;; amdgpu-corpus repo=ROCm/rocFFT kind=compiled arch=gfx1201 opt=O3
	.text
	.amdgcn_target "amdgcn-amd-amdhsa--gfx1201"
	.amdhsa_code_object_version 6
	.protected	fft_rtc_back_len2160_factors_10_6_6_6_wgs_60_tpt_60_halfLds_sp_op_CI_CI_sbrr_dirReg ; -- Begin function fft_rtc_back_len2160_factors_10_6_6_6_wgs_60_tpt_60_halfLds_sp_op_CI_CI_sbrr_dirReg
	.globl	fft_rtc_back_len2160_factors_10_6_6_6_wgs_60_tpt_60_halfLds_sp_op_CI_CI_sbrr_dirReg
	.p2align	8
	.type	fft_rtc_back_len2160_factors_10_6_6_6_wgs_60_tpt_60_halfLds_sp_op_CI_CI_sbrr_dirReg,@function
fft_rtc_back_len2160_factors_10_6_6_6_wgs_60_tpt_60_halfLds_sp_op_CI_CI_sbrr_dirReg: ; @fft_rtc_back_len2160_factors_10_6_6_6_wgs_60_tpt_60_halfLds_sp_op_CI_CI_sbrr_dirReg
; %bb.0:
	s_clause 0x2
	s_load_b128 s[12:15], s[0:1], 0x18
	s_load_b128 s[8:11], s[0:1], 0x0
	;; [unrolled: 1-line block ×3, first 2 shown]
	v_mul_u32_u24_e32 v1, 0x445, v0
	v_mov_b32_e32 v84, 0
	v_mov_b32_e32 v85, 0
	s_wait_kmcnt 0x0
	s_load_b64 s[18:19], s[12:13], 0x0
	s_load_b64 s[16:17], s[14:15], 0x0
	v_lshrrev_b32_e32 v2, 16, v1
	v_mov_b32_e32 v1, 0
	v_cmp_lt_u64_e64 s2, s[10:11], 2
	s_delay_alu instid0(VALU_DEP_2) | instskip(NEXT) | instid1(VALU_DEP_2)
	v_dual_mov_b32 v4, v1 :: v_dual_add_nc_u32 v3, ttmp9, v2
	s_and_b32 vcc_lo, exec_lo, s2
	s_cbranch_vccnz .LBB0_8
; %bb.1:
	s_load_b64 s[2:3], s[0:1], 0x10
	v_mov_b32_e32 v84, 0
	v_mov_b32_e32 v85, 0
	s_delay_alu instid0(VALU_DEP_2)
	v_mov_b32_e32 v48, v84
	s_add_nc_u64 s[20:21], s[14:15], 8
	s_add_nc_u64 s[22:23], s[12:13], 8
	s_mov_b64 s[24:25], 1
	v_mov_b32_e32 v49, v85
	s_wait_kmcnt 0x0
	s_add_nc_u64 s[26:27], s[2:3], 8
	s_mov_b32 s3, 0
.LBB0_2:                                ; =>This Inner Loop Header: Depth=1
	s_load_b64 s[28:29], s[26:27], 0x0
                                        ; implicit-def: $vgpr20_vgpr21
	s_mov_b32 s2, exec_lo
	s_wait_kmcnt 0x0
	v_or_b32_e32 v2, s29, v4
	s_delay_alu instid0(VALU_DEP_1)
	v_cmpx_ne_u64_e32 0, v[1:2]
	s_wait_alu 0xfffe
	s_xor_b32 s30, exec_lo, s2
	s_cbranch_execz .LBB0_4
; %bb.3:                                ;   in Loop: Header=BB0_2 Depth=1
	s_cvt_f32_u32 s2, s28
	s_cvt_f32_u32 s31, s29
	s_sub_nc_u64 s[36:37], 0, s[28:29]
	s_wait_alu 0xfffe
	s_delay_alu instid0(SALU_CYCLE_1) | instskip(SKIP_1) | instid1(SALU_CYCLE_2)
	s_fmamk_f32 s2, s31, 0x4f800000, s2
	s_wait_alu 0xfffe
	v_s_rcp_f32 s2, s2
	s_delay_alu instid0(TRANS32_DEP_1) | instskip(SKIP_1) | instid1(SALU_CYCLE_2)
	s_mul_f32 s2, s2, 0x5f7ffffc
	s_wait_alu 0xfffe
	s_mul_f32 s31, s2, 0x2f800000
	s_wait_alu 0xfffe
	s_delay_alu instid0(SALU_CYCLE_2) | instskip(SKIP_1) | instid1(SALU_CYCLE_2)
	s_trunc_f32 s31, s31
	s_wait_alu 0xfffe
	s_fmamk_f32 s2, s31, 0xcf800000, s2
	s_cvt_u32_f32 s35, s31
	s_wait_alu 0xfffe
	s_delay_alu instid0(SALU_CYCLE_1) | instskip(SKIP_1) | instid1(SALU_CYCLE_2)
	s_cvt_u32_f32 s34, s2
	s_wait_alu 0xfffe
	s_mul_u64 s[38:39], s[36:37], s[34:35]
	s_wait_alu 0xfffe
	s_mul_hi_u32 s41, s34, s39
	s_mul_i32 s40, s34, s39
	s_mul_hi_u32 s2, s34, s38
	s_mul_i32 s33, s35, s38
	s_wait_alu 0xfffe
	s_add_nc_u64 s[40:41], s[2:3], s[40:41]
	s_mul_hi_u32 s31, s35, s38
	s_mul_hi_u32 s42, s35, s39
	s_add_co_u32 s2, s40, s33
	s_wait_alu 0xfffe
	s_add_co_ci_u32 s2, s41, s31
	s_mul_i32 s38, s35, s39
	s_add_co_ci_u32 s39, s42, 0
	s_wait_alu 0xfffe
	s_add_nc_u64 s[38:39], s[2:3], s[38:39]
	s_wait_alu 0xfffe
	v_add_co_u32 v2, s2, s34, s38
	s_delay_alu instid0(VALU_DEP_1) | instskip(SKIP_1) | instid1(VALU_DEP_1)
	s_cmp_lg_u32 s2, 0
	s_add_co_ci_u32 s35, s35, s39
	v_readfirstlane_b32 s34, v2
	s_wait_alu 0xfffe
	s_delay_alu instid0(VALU_DEP_1)
	s_mul_u64 s[36:37], s[36:37], s[34:35]
	s_wait_alu 0xfffe
	s_mul_hi_u32 s39, s34, s37
	s_mul_i32 s38, s34, s37
	s_mul_hi_u32 s2, s34, s36
	s_mul_i32 s33, s35, s36
	s_wait_alu 0xfffe
	s_add_nc_u64 s[38:39], s[2:3], s[38:39]
	s_mul_hi_u32 s31, s35, s36
	s_mul_hi_u32 s34, s35, s37
	s_wait_alu 0xfffe
	s_add_co_u32 s2, s38, s33
	s_add_co_ci_u32 s2, s39, s31
	s_mul_i32 s36, s35, s37
	s_add_co_ci_u32 s37, s34, 0
	s_wait_alu 0xfffe
	s_add_nc_u64 s[36:37], s[2:3], s[36:37]
	s_wait_alu 0xfffe
	v_add_co_u32 v2, s2, v2, s36
	s_delay_alu instid0(VALU_DEP_1) | instskip(SKIP_1) | instid1(VALU_DEP_1)
	s_cmp_lg_u32 s2, 0
	s_add_co_ci_u32 s2, s35, s37
	v_mul_hi_u32 v11, v3, v2
	s_wait_alu 0xfffe
	v_mad_co_u64_u32 v[5:6], null, v3, s2, 0
	v_mad_co_u64_u32 v[7:8], null, v4, v2, 0
	;; [unrolled: 1-line block ×3, first 2 shown]
	s_delay_alu instid0(VALU_DEP_3) | instskip(SKIP_1) | instid1(VALU_DEP_4)
	v_add_co_u32 v2, vcc_lo, v11, v5
	s_wait_alu 0xfffd
	v_add_co_ci_u32_e32 v5, vcc_lo, 0, v6, vcc_lo
	s_delay_alu instid0(VALU_DEP_2) | instskip(SKIP_1) | instid1(VALU_DEP_2)
	v_add_co_u32 v2, vcc_lo, v2, v7
	s_wait_alu 0xfffd
	v_add_co_ci_u32_e32 v2, vcc_lo, v5, v8, vcc_lo
	s_wait_alu 0xfffd
	v_add_co_ci_u32_e32 v5, vcc_lo, 0, v10, vcc_lo
	s_delay_alu instid0(VALU_DEP_2) | instskip(SKIP_1) | instid1(VALU_DEP_2)
	v_add_co_u32 v2, vcc_lo, v2, v9
	s_wait_alu 0xfffd
	v_add_co_ci_u32_e32 v7, vcc_lo, 0, v5, vcc_lo
	s_delay_alu instid0(VALU_DEP_2) | instskip(SKIP_1) | instid1(VALU_DEP_3)
	v_mul_lo_u32 v8, s29, v2
	v_mad_co_u64_u32 v[5:6], null, s28, v2, 0
	v_mul_lo_u32 v9, s28, v7
	s_delay_alu instid0(VALU_DEP_2) | instskip(NEXT) | instid1(VALU_DEP_2)
	v_sub_co_u32 v5, vcc_lo, v3, v5
	v_add3_u32 v6, v6, v9, v8
	s_delay_alu instid0(VALU_DEP_1) | instskip(SKIP_1) | instid1(VALU_DEP_1)
	v_sub_nc_u32_e32 v8, v4, v6
	s_wait_alu 0xfffd
	v_subrev_co_ci_u32_e64 v8, s2, s29, v8, vcc_lo
	v_add_co_u32 v9, s2, v2, 2
	s_wait_alu 0xf1ff
	v_add_co_ci_u32_e64 v10, s2, 0, v7, s2
	v_sub_co_u32 v11, s2, v5, s28
	v_sub_co_ci_u32_e32 v6, vcc_lo, v4, v6, vcc_lo
	s_wait_alu 0xf1ff
	v_subrev_co_ci_u32_e64 v8, s2, 0, v8, s2
	s_delay_alu instid0(VALU_DEP_3) | instskip(NEXT) | instid1(VALU_DEP_3)
	v_cmp_le_u32_e32 vcc_lo, s28, v11
	v_cmp_eq_u32_e64 s2, s29, v6
	s_wait_alu 0xfffd
	v_cndmask_b32_e64 v11, 0, -1, vcc_lo
	v_cmp_le_u32_e32 vcc_lo, s29, v8
	s_wait_alu 0xfffd
	v_cndmask_b32_e64 v12, 0, -1, vcc_lo
	v_cmp_le_u32_e32 vcc_lo, s28, v5
	;; [unrolled: 3-line block ×3, first 2 shown]
	s_wait_alu 0xfffd
	v_cndmask_b32_e64 v13, 0, -1, vcc_lo
	v_cmp_eq_u32_e32 vcc_lo, s29, v8
	s_wait_alu 0xf1ff
	s_delay_alu instid0(VALU_DEP_2)
	v_cndmask_b32_e64 v5, v13, v5, s2
	s_wait_alu 0xfffd
	v_cndmask_b32_e32 v8, v12, v11, vcc_lo
	v_add_co_u32 v11, vcc_lo, v2, 1
	s_wait_alu 0xfffd
	v_add_co_ci_u32_e32 v12, vcc_lo, 0, v7, vcc_lo
	s_delay_alu instid0(VALU_DEP_3) | instskip(SKIP_1) | instid1(VALU_DEP_2)
	v_cmp_ne_u32_e32 vcc_lo, 0, v8
	s_wait_alu 0xfffd
	v_cndmask_b32_e32 v6, v12, v10, vcc_lo
	v_cndmask_b32_e32 v8, v11, v9, vcc_lo
	v_cmp_ne_u32_e32 vcc_lo, 0, v5
	s_wait_alu 0xfffd
	s_delay_alu instid0(VALU_DEP_2)
	v_dual_cndmask_b32 v21, v7, v6 :: v_dual_cndmask_b32 v20, v2, v8
.LBB0_4:                                ;   in Loop: Header=BB0_2 Depth=1
	s_wait_alu 0xfffe
	s_and_not1_saveexec_b32 s2, s30
	s_cbranch_execz .LBB0_6
; %bb.5:                                ;   in Loop: Header=BB0_2 Depth=1
	v_cvt_f32_u32_e32 v2, s28
	s_sub_co_i32 s30, 0, s28
	v_mov_b32_e32 v21, v1
	s_delay_alu instid0(VALU_DEP_2) | instskip(NEXT) | instid1(TRANS32_DEP_1)
	v_rcp_iflag_f32_e32 v2, v2
	v_mul_f32_e32 v2, 0x4f7ffffe, v2
	s_delay_alu instid0(VALU_DEP_1) | instskip(SKIP_1) | instid1(VALU_DEP_1)
	v_cvt_u32_f32_e32 v2, v2
	s_wait_alu 0xfffe
	v_mul_lo_u32 v5, s30, v2
	s_delay_alu instid0(VALU_DEP_1) | instskip(NEXT) | instid1(VALU_DEP_1)
	v_mul_hi_u32 v5, v2, v5
	v_add_nc_u32_e32 v2, v2, v5
	s_delay_alu instid0(VALU_DEP_1) | instskip(NEXT) | instid1(VALU_DEP_1)
	v_mul_hi_u32 v2, v3, v2
	v_mul_lo_u32 v5, v2, s28
	v_add_nc_u32_e32 v6, 1, v2
	s_delay_alu instid0(VALU_DEP_2) | instskip(NEXT) | instid1(VALU_DEP_1)
	v_sub_nc_u32_e32 v5, v3, v5
	v_subrev_nc_u32_e32 v7, s28, v5
	v_cmp_le_u32_e32 vcc_lo, s28, v5
	s_wait_alu 0xfffd
	s_delay_alu instid0(VALU_DEP_2) | instskip(NEXT) | instid1(VALU_DEP_1)
	v_dual_cndmask_b32 v5, v5, v7 :: v_dual_cndmask_b32 v2, v2, v6
	v_cmp_le_u32_e32 vcc_lo, s28, v5
	s_delay_alu instid0(VALU_DEP_2) | instskip(SKIP_1) | instid1(VALU_DEP_1)
	v_add_nc_u32_e32 v6, 1, v2
	s_wait_alu 0xfffd
	v_cndmask_b32_e32 v20, v2, v6, vcc_lo
.LBB0_6:                                ;   in Loop: Header=BB0_2 Depth=1
	s_wait_alu 0xfffe
	s_or_b32 exec_lo, exec_lo, s2
	v_mul_lo_u32 v2, v21, s28
	s_delay_alu instid0(VALU_DEP_2)
	v_mul_lo_u32 v7, v20, s29
	s_load_b64 s[30:31], s[22:23], 0x0
	v_mad_co_u64_u32 v[5:6], null, v20, s28, 0
	s_load_b64 s[28:29], s[20:21], 0x0
	s_add_nc_u64 s[24:25], s[24:25], 1
	s_add_nc_u64 s[20:21], s[20:21], 8
	s_wait_alu 0xfffe
	v_cmp_ge_u64_e64 s2, s[24:25], s[10:11]
	s_add_nc_u64 s[22:23], s[22:23], 8
	s_add_nc_u64 s[26:27], s[26:27], 8
	v_add3_u32 v2, v6, v7, v2
	v_sub_co_u32 v3, vcc_lo, v3, v5
	s_wait_alu 0xfffd
	s_delay_alu instid0(VALU_DEP_2) | instskip(SKIP_2) | instid1(VALU_DEP_1)
	v_sub_co_ci_u32_e32 v2, vcc_lo, v4, v2, vcc_lo
	s_and_b32 vcc_lo, exec_lo, s2
	s_wait_kmcnt 0x0
	v_mul_lo_u32 v4, s30, v2
	v_mul_lo_u32 v5, s31, v3
	v_mad_co_u64_u32 v[84:85], null, s30, v3, v[84:85]
	v_mul_lo_u32 v2, s28, v2
	v_mul_lo_u32 v6, s29, v3
	v_mad_co_u64_u32 v[48:49], null, s28, v3, v[48:49]
	s_delay_alu instid0(VALU_DEP_4) | instskip(NEXT) | instid1(VALU_DEP_2)
	v_add3_u32 v85, v5, v85, v4
	v_add3_u32 v49, v6, v49, v2
	s_wait_alu 0xfffe
	s_cbranch_vccnz .LBB0_9
; %bb.7:                                ;   in Loop: Header=BB0_2 Depth=1
	v_dual_mov_b32 v3, v20 :: v_dual_mov_b32 v4, v21
	s_branch .LBB0_2
.LBB0_8:
	v_dual_mov_b32 v48, v84 :: v_dual_mov_b32 v49, v85
	s_delay_alu instid0(VALU_DEP_2)
	v_dual_mov_b32 v21, v4 :: v_dual_mov_b32 v20, v3
.LBB0_9:
	s_load_b64 s[0:1], s[0:1], 0x28
	v_mul_hi_u32 v2, 0x4444445, v0
	s_lshl_b64 s[10:11], s[10:11], 3
                                        ; implicit-def: $vgpr110
                                        ; implicit-def: $vgpr88
                                        ; implicit-def: $vgpr89
	s_wait_alu 0xfffe
	s_add_nc_u64 s[2:3], s[14:15], s[10:11]
	s_wait_kmcnt 0x0
	v_cmp_gt_u64_e32 vcc_lo, s[0:1], v[20:21]
	v_cmp_le_u64_e64 s0, s[0:1], v[20:21]
	s_delay_alu instid0(VALU_DEP_1)
	s_and_saveexec_b32 s1, s0
	s_wait_alu 0xfffe
	s_xor_b32 s0, exec_lo, s1
; %bb.10:
	v_mul_u32_u24_e32 v1, 60, v2
                                        ; implicit-def: $vgpr2
                                        ; implicit-def: $vgpr84_vgpr85
	s_delay_alu instid0(VALU_DEP_1) | instskip(NEXT) | instid1(VALU_DEP_1)
	v_sub_nc_u32_e32 v110, v0, v1
                                        ; implicit-def: $vgpr0
	v_add_nc_u32_e32 v88, 60, v110
	v_add_nc_u32_e32 v89, 0x78, v110
; %bb.11:
	s_wait_alu 0xfffe
	s_or_saveexec_b32 s1, s0
	s_load_b64 s[2:3], s[2:3], 0x0
                                        ; implicit-def: $vgpr63
                                        ; implicit-def: $vgpr83
                                        ; implicit-def: $vgpr67
                                        ; implicit-def: $vgpr81
                                        ; implicit-def: $vgpr69
                                        ; implicit-def: $vgpr73
                                        ; implicit-def: $vgpr43
                                        ; implicit-def: $vgpr47
                                        ; implicit-def: $vgpr41
                                        ; implicit-def: $vgpr25
                                        ; implicit-def: $vgpr61
                                        ; implicit-def: $vgpr77
                                        ; implicit-def: $vgpr65
                                        ; implicit-def: $vgpr75
                                        ; implicit-def: $vgpr71
                                        ; implicit-def: $vgpr79
                                        ; implicit-def: $vgpr45
                                        ; implicit-def: $vgpr53
                                        ; implicit-def: $vgpr37
                                        ; implicit-def: $vgpr13
                                        ; implicit-def: $vgpr51
                                        ; implicit-def: $vgpr59
                                        ; implicit-def: $vgpr55
                                        ; implicit-def: $vgpr57
                                        ; implicit-def: $vgpr27
                                        ; implicit-def: $vgpr31
                                        ; implicit-def: $vgpr33
                                        ; implicit-def: $vgpr29
                                        ; implicit-def: $vgpr11
                                        ; implicit-def: $vgpr5
                                        ; implicit-def: $vgpr35
                                        ; implicit-def: $vgpr39
                                        ; implicit-def: $vgpr15
                                        ; implicit-def: $vgpr19
                                        ; implicit-def: $vgpr17
                                        ; implicit-def: $vgpr23
                                        ; implicit-def: $vgpr9
                                        ; implicit-def: $vgpr7
                                        ; implicit-def: $vgpr3
                                        ; implicit-def: $vgpr1
	s_xor_b32 exec_lo, exec_lo, s1
	s_cbranch_execz .LBB0_15
; %bb.12:
	s_add_nc_u64 s[10:11], s[12:13], s[10:11]
	v_mul_u32_u24_e32 v1, 60, v2
	s_load_b64 s[10:11], s[10:11], 0x0
	v_lshlrev_b64_e32 v[10:11], 3, v[84:85]
                                        ; implicit-def: $vgpr72
                                        ; implicit-def: $vgpr80
                                        ; implicit-def: $vgpr82
	s_delay_alu instid0(VALU_DEP_2) | instskip(NEXT) | instid1(VALU_DEP_1)
	v_sub_nc_u32_e32 v110, v0, v1
	v_add_nc_u32_e32 v14, 0xd8, v110
	v_add_nc_u32_e32 v15, 0x1b0, v110
	v_mad_co_u64_u32 v[0:1], null, s18, v110, 0
	v_add_nc_u32_e32 v19, 0x360, v110
	s_delay_alu instid0(VALU_DEP_4) | instskip(NEXT) | instid1(VALU_DEP_4)
	v_mad_co_u64_u32 v[2:3], null, s18, v14, 0
	v_mad_co_u64_u32 v[4:5], null, s18, v15, 0
	v_add_nc_u32_e32 v16, 0x288, v110
	v_add_nc_u32_e32 v25, 0x5e8, v110
	s_wait_kmcnt 0x0
	v_mul_lo_u32 v17, s11, v20
	v_mul_lo_u32 v18, s10, v21
	v_mad_co_u64_u32 v[8:9], null, s10, v20, 0
	v_mad_co_u64_u32 v[12:13], null, s19, v110, v[1:2]
	v_mov_b32_e32 v1, v3
	v_mov_b32_e32 v3, v5
	v_mad_co_u64_u32 v[6:7], null, s18, v16, 0
	v_add3_u32 v9, v9, v18, v17
	s_delay_alu instid0(VALU_DEP_4) | instskip(SKIP_1) | instid1(VALU_DEP_4)
	v_mad_co_u64_u32 v[13:14], null, s19, v14, v[1:2]
	v_dual_mov_b32 v1, v12 :: v_dual_add_nc_u32 v18, 0x438, v110
	v_dual_mov_b32 v5, v7 :: v_dual_add_nc_u32 v24, 0x510, v110
	s_delay_alu instid0(VALU_DEP_4) | instskip(SKIP_1) | instid1(VALU_DEP_4)
	v_lshlrev_b64_e32 v[7:8], 3, v[8:9]
	v_mad_co_u64_u32 v[22:23], null, s18, v25, 0
	v_lshlrev_b64_e32 v[0:1], 3, v[0:1]
	v_add_nc_u32_e32 v89, 0x78, v110
	v_add_nc_u32_e32 v30, 0x798, v110
	v_add_co_u32 v7, s0, s4, v7
	s_wait_alu 0xf1ff
	v_add_co_ci_u32_e64 v8, s0, s5, v8, s0
	s_mov_b32 s4, exec_lo
	s_delay_alu instid0(VALU_DEP_2) | instskip(SKIP_1) | instid1(VALU_DEP_2)
	v_add_co_u32 v63, s0, v7, v10
	s_wait_alu 0xf1ff
	v_add_co_ci_u32_e64 v67, s0, v8, v11, s0
	v_mad_co_u64_u32 v[10:11], null, s18, v19, 0
	s_delay_alu instid0(VALU_DEP_3) | instskip(SKIP_1) | instid1(VALU_DEP_3)
	v_add_co_u32 v0, s0, v63, v0
	s_wait_alu 0xf1ff
	v_add_co_ci_u32_e64 v1, s0, v67, v1, s0
	v_mad_co_u64_u32 v[26:27], null, s18, v30, 0
	s_delay_alu instid0(VALU_DEP_4) | instskip(SKIP_4) | instid1(VALU_DEP_4)
	v_mov_b32_e32 v8, v11
	v_mad_co_u64_u32 v[14:15], null, s19, v15, v[3:4]
	v_mad_co_u64_u32 v[15:16], null, s19, v16, v[5:6]
	v_mov_b32_e32 v3, v13
	v_mad_co_u64_u32 v[12:13], null, s18, v18, 0
	v_dual_mov_b32 v5, v14 :: v_dual_add_nc_u32 v88, 60, v110
	s_delay_alu instid0(VALU_DEP_3) | instskip(SKIP_2) | instid1(VALU_DEP_4)
	v_lshlrev_b64_e32 v[2:3], 3, v[2:3]
	v_dual_mov_b32 v7, v15 :: v_dual_add_nc_u32 v36, 0x114, v110
	v_mad_co_u64_u32 v[8:9], null, s19, v19, v[8:9]
	v_lshlrev_b64_e32 v[4:5], 3, v[4:5]
	v_mad_co_u64_u32 v[14:15], null, s18, v24, 0
	v_mad_co_u64_u32 v[28:29], null, s18, v88, 0
	v_mov_b32_e32 v9, v13
	v_add_co_u32 v2, s0, v63, v2
	v_lshlrev_b64_e32 v[6:7], 3, v[6:7]
	s_wait_alu 0xf1ff
	v_add_co_ci_u32_e64 v3, s0, v67, v3, s0
	v_mad_co_u64_u32 v[18:19], null, s19, v18, v[9:10]
	v_add_co_u32 v4, s0, v63, v4
	s_wait_alu 0xf1ff
	v_add_co_ci_u32_e64 v5, s0, v67, v5, s0
	v_mov_b32_e32 v13, v15
	v_mad_co_u64_u32 v[32:33], null, s18, v36, 0
	v_mov_b32_e32 v11, v8
	v_add_co_u32 v16, s0, v63, v6
	s_wait_alu 0xf1ff
	v_add_co_ci_u32_e64 v17, s0, v67, v7, s0
	s_clause 0x3
	global_load_b64 v[0:1], v[0:1], off
	global_load_b64 v[2:3], v[2:3], off
	;; [unrolled: 1-line block ×4, first 2 shown]
	v_lshlrev_b64_e32 v[4:5], 3, v[10:11]
	v_mad_co_u64_u32 v[10:11], null, s19, v24, v[13:14]
	v_mov_b32_e32 v13, v18
	v_dual_mov_b32 v11, v23 :: v_dual_add_nc_u32 v42, 0x474, v110
	v_or_b32_e32 v18, 0x6c0, v110
	v_add_co_u32 v4, s0, v63, v4
	s_delay_alu instid0(VALU_DEP_4) | instskip(SKIP_4) | instid1(VALU_DEP_4)
	v_lshlrev_b64_e32 v[12:13], 3, v[12:13]
	v_mov_b32_e32 v15, v10
	s_wait_alu 0xf1ff
	v_add_co_ci_u32_e64 v5, s0, v67, v5, s0
	v_mad_co_u64_u32 v[40:41], null, s18, v42, 0
	v_mad_co_u64_u32 v[10:11], null, s19, v25, v[11:12]
	;; [unrolled: 1-line block ×3, first 2 shown]
	v_add_co_u32 v11, s0, v63, v12
	s_wait_alu 0xf1ff
	v_add_co_ci_u32_e64 v12, s0, v67, v13, s0
	s_delay_alu instid0(VALU_DEP_4) | instskip(SKIP_3) | instid1(VALU_DEP_4)
	v_mov_b32_e32 v23, v10
	v_lshlrev_b64_e32 v[13:14], 3, v[14:15]
	v_dual_mov_b32 v10, v25 :: v_dual_mov_b32 v17, v27
	v_add_nc_u32_e32 v50, 0x6fc, v110
	v_lshlrev_b64_e32 v[15:16], 3, v[22:23]
	v_add_nc_u32_e32 v46, 0x624, v110
	s_delay_alu instid0(VALU_DEP_4)
	v_mad_co_u64_u32 v[18:19], null, s19, v18, v[10:11]
	v_add_co_u32 v13, s0, v63, v13
	s_wait_alu 0xf1ff
	v_add_co_ci_u32_e64 v14, s0, v67, v14, s0
	v_mov_b32_e32 v10, v29
	v_add_nc_u32_e32 v62, 0x588, v110
	v_mad_co_u64_u32 v[22:23], null, s19, v30, v[17:18]
	v_add_co_u32 v30, s0, v63, v15
	s_wait_alu 0xf1ff
	v_add_co_ci_u32_e64 v31, s0, v67, v16, s0
	v_mov_b32_e32 v25, v18
	v_mad_co_u64_u32 v[34:35], null, s19, v88, v[10:11]
	v_mov_b32_e32 v27, v22
	s_clause 0x3
	global_load_b64 v[22:23], v[4:5], off
	global_load_b64 v[16:17], v[11:12], off
	;; [unrolled: 1-line block ×4, first 2 shown]
	v_dual_mov_b32 v10, v33 :: v_dual_add_nc_u32 v13, 0x1ec, v110
	v_lshlrev_b64_e32 v[4:5], 3, v[24:25]
	v_lshlrev_b64_e32 v[11:12], 3, v[26:27]
	v_dual_mov_b32 v29, v34 :: v_dual_add_nc_u32 v68, 0x660, v110
	s_delay_alu instid0(VALU_DEP_3) | instskip(NEXT) | instid1(VALU_DEP_3)
	v_add_co_u32 v4, s0, v63, v4
	v_mad_co_u64_u32 v[24:25], null, s19, v36, v[10:11]
	v_mad_co_u64_u32 v[25:26], null, s18, v13, 0
	s_wait_alu 0xf1ff
	v_add_co_ci_u32_e64 v5, s0, v67, v5, s0
	v_add_co_u32 v10, s0, v63, v11
	s_wait_alu 0xf1ff
	v_add_co_ci_u32_e64 v11, s0, v67, v12, s0
	s_delay_alu instid0(VALU_DEP_4) | instskip(SKIP_2) | instid1(VALU_DEP_3)
	v_dual_mov_b32 v33, v24 :: v_dual_mov_b32 v12, v26
	v_add_nc_u32_e32 v24, 0x2c4, v110
	v_lshlrev_b64_e32 v[27:28], 3, v[28:29]
	v_lshlrev_b64_e32 v[29:30], 3, v[32:33]
	s_delay_alu instid0(VALU_DEP_4) | instskip(NEXT) | instid1(VALU_DEP_4)
	v_mad_co_u64_u32 v[12:13], null, s19, v13, v[12:13]
	v_mad_co_u64_u32 v[31:32], null, s18, v24, 0
	v_add_nc_u32_e32 v33, 0x39c, v110
	v_add_co_u32 v27, s0, v63, v27
	s_wait_alu 0xf1ff
	v_add_co_ci_u32_e64 v28, s0, v67, v28, s0
	v_mov_b32_e32 v26, v12
	v_mov_b32_e32 v12, v32
	v_mad_co_u64_u32 v[36:37], null, s18, v33, 0
	v_add_co_u32 v29, s0, v63, v29
	s_delay_alu instid0(VALU_DEP_3) | instskip(SKIP_1) | instid1(VALU_DEP_4)
	v_mad_co_u64_u32 v[12:13], null, s19, v24, v[12:13]
	v_lshlrev_b64_e32 v[24:25], 3, v[25:26]
	v_dual_mov_b32 v26, v41 :: v_dual_mov_b32 v13, v37
	s_wait_alu 0xf1ff
	v_add_co_ci_u32_e64 v30, s0, v67, v30, s0
	s_clause 0x3
	global_load_b64 v[38:39], v[4:5], off
	global_load_b64 v[34:35], v[10:11], off
	;; [unrolled: 1-line block ×4, first 2 shown]
	v_mov_b32_e32 v32, v12
	v_mad_co_u64_u32 v[26:27], null, s19, v42, v[26:27]
	v_add_co_u32 v24, s0, v63, v24
	s_delay_alu instid0(VALU_DEP_3) | instskip(SKIP_2) | instid1(VALU_DEP_4)
	v_lshlrev_b64_e32 v[27:28], 3, v[31:32]
	s_wait_alu 0xf1ff
	v_add_co_ci_u32_e64 v25, s0, v67, v25, s0
	v_mov_b32_e32 v41, v26
	s_delay_alu instid0(VALU_DEP_3) | instskip(SKIP_2) | instid1(VALU_DEP_3)
	v_add_co_u32 v26, s0, v63, v27
	s_wait_alu 0xf1ff
	v_add_co_ci_u32_e64 v27, s0, v67, v28, s0
	v_lshlrev_b64_e32 v[30:31], 3, v[40:41]
	v_mad_co_u64_u32 v[40:41], null, s18, v50, 0
	s_wait_loadcnt 0x4
	v_mad_co_u64_u32 v[12:13], null, s19, v33, v[13:14]
	v_add_nc_u32_e32 v33, 0x54c, v110
	s_delay_alu instid0(VALU_DEP_2) | instskip(NEXT) | instid1(VALU_DEP_2)
	v_mov_b32_e32 v37, v12
	v_mad_co_u64_u32 v[12:13], null, s18, v33, 0
	s_delay_alu instid0(VALU_DEP_2) | instskip(SKIP_1) | instid1(VALU_DEP_3)
	v_lshlrev_b64_e32 v[28:29], 3, v[36:37]
	v_mad_co_u64_u32 v[36:37], null, s18, v46, 0
	v_mad_co_u64_u32 v[32:33], null, s19, v33, v[13:14]
	s_delay_alu instid0(VALU_DEP_3) | instskip(SKIP_1) | instid1(VALU_DEP_4)
	v_add_co_u32 v42, s0, v63, v28
	s_wait_alu 0xf1ff
	v_add_co_ci_u32_e64 v43, s0, v67, v29, s0
	s_delay_alu instid0(VALU_DEP_4)
	v_dual_mov_b32 v28, v37 :: v_dual_mov_b32 v29, v41
	v_add_co_u32 v44, s0, v63, v30
	s_wait_alu 0xf1ff
	v_add_co_ci_u32_e64 v45, s0, v67, v31, s0
	v_mov_b32_e32 v13, v32
	v_mad_co_u64_u32 v[46:47], null, s19, v46, v[28:29]
	v_mad_co_u64_u32 v[50:51], null, s19, v50, v[29:30]
	s_clause 0x3
	global_load_b64 v[28:29], v[24:25], off
	global_load_b64 v[32:33], v[26:27], off
	;; [unrolled: 1-line block ×4, first 2 shown]
	v_add_nc_u32_e32 v47, 0x7d4, v110
	v_lshlrev_b64_e32 v[12:13], 3, v[12:13]
	v_mov_b32_e32 v37, v46
	s_delay_alu instid0(VALU_DEP_3) | instskip(SKIP_1) | instid1(VALU_DEP_3)
	v_mad_co_u64_u32 v[24:25], null, s18, v47, 0
	v_dual_mov_b32 v41, v50 :: v_dual_add_nc_u32 v50, 0x150, v110
	v_lshlrev_b64_e32 v[36:37], 3, v[36:37]
	v_add_co_u32 v12, s0, v63, v12
	s_delay_alu instid0(VALU_DEP_3) | instskip(NEXT) | instid1(VALU_DEP_4)
	v_lshlrev_b64_e32 v[40:41], 3, v[40:41]
	v_mad_co_u64_u32 v[45:46], null, s18, v50, 0
	s_wait_alu 0xf1ff
	v_add_co_ci_u32_e64 v13, s0, v67, v13, s0
	v_add_co_u32 v36, s0, v63, v36
	s_wait_alu 0xf1ff
	v_add_co_ci_u32_e64 v37, s0, v67, v37, s0
	v_add_co_u32 v40, s0, v63, v40
	s_wait_alu 0xf1ff
	v_add_co_ci_u32_e64 v41, s0, v67, v41, s0
	s_wait_loadcnt 0x0
	v_mad_co_u64_u32 v[42:43], null, s19, v47, v[25:26]
	v_mad_co_u64_u32 v[43:44], null, s18, v89, 0
	s_delay_alu instid0(VALU_DEP_1) | instskip(SKIP_1) | instid1(VALU_DEP_2)
	v_dual_mov_b32 v25, v42 :: v_dual_mov_b32 v42, v44
	v_mov_b32_e32 v44, v46
	v_lshlrev_b64_e32 v[24:25], 3, v[24:25]
	s_delay_alu instid0(VALU_DEP_3) | instskip(SKIP_4) | instid1(VALU_DEP_4)
	v_mad_co_u64_u32 v[46:47], null, s19, v89, v[42:43]
	v_add_nc_u32_e32 v42, 0x228, v110
	v_or_b32_e32 v47, 0x300, v110
	v_mad_co_u64_u32 v[50:51], null, s19, v50, v[44:45]
	v_add_co_u32 v24, s0, v63, v24
	v_mad_co_u64_u32 v[52:53], null, s18, v42, 0
	s_delay_alu instid0(VALU_DEP_4)
	v_mad_co_u64_u32 v[60:61], null, s18, v47, 0
	v_mov_b32_e32 v44, v46
	v_mov_b32_e32 v46, v50
	s_wait_alu 0xf1ff
	v_add_co_ci_u32_e64 v25, s0, v67, v25, s0
	s_clause 0x3
	global_load_b64 v[56:57], v[12:13], off
	global_load_b64 v[54:55], v[36:37], off
	;; [unrolled: 1-line block ×4, first 2 shown]
	v_dual_mov_b32 v24, v53 :: v_dual_mov_b32 v25, v61
	v_lshlrev_b64_e32 v[36:37], 3, v[45:46]
	v_add_nc_u32_e32 v46, 0x3d8, v110
	v_lshlrev_b64_e32 v[12:13], 3, v[43:44]
	s_delay_alu instid0(VALU_DEP_4) | instskip(SKIP_1) | instid1(VALU_DEP_4)
	v_mad_co_u64_u32 v[40:41], null, s19, v42, v[24:25]
	v_mad_co_u64_u32 v[24:25], null, s19, v47, v[25:26]
	;; [unrolled: 1-line block ×3, first 2 shown]
	s_delay_alu instid0(VALU_DEP_4)
	v_add_co_u32 v12, s0, v63, v12
	s_wait_alu 0xf1ff
	v_add_co_ci_u32_e64 v13, s0, v67, v13, s0
	v_mov_b32_e32 v53, v40
	v_mov_b32_e32 v61, v24
	v_add_co_u32 v24, s0, v63, v36
	v_mov_b32_e32 v36, v42
	v_add_nc_u32_e32 v40, 0x4b0, v110
	s_wait_alu 0xf1ff
	v_add_co_ci_u32_e64 v25, s0, v67, v37, s0
	v_lshlrev_b64_e32 v[42:43], 3, v[52:53]
	v_mad_co_u64_u32 v[36:37], null, s19, v46, v[36:37]
	v_mad_co_u64_u32 v[46:47], null, s18, v40, 0
	v_lshlrev_b64_e32 v[44:45], 3, v[60:61]
	s_delay_alu instid0(VALU_DEP_4)
	v_add_co_u32 v52, s0, v63, v42
	v_mad_co_u64_u32 v[60:61], null, s18, v62, 0
	v_mov_b32_e32 v42, v36
	v_mov_b32_e32 v36, v47
	s_wait_alu 0xf1ff
	v_add_co_ci_u32_e64 v53, s0, v67, v43, s0
	v_add_co_u32 v43, s0, v63, v44
	s_delay_alu instid0(VALU_DEP_3)
	v_mad_co_u64_u32 v[64:65], null, s19, v40, v[36:37]
	s_wait_alu 0xf1ff
	v_add_co_ci_u32_e64 v44, s0, v67, v45, s0
	v_mad_co_u64_u32 v[65:66], null, s18, v68, 0
	s_clause 0x3
	global_load_b64 v[12:13], v[12:13], off
	global_load_b64 v[36:37], v[24:25], off
	global_load_b64 v[52:53], v[52:53], off
	global_load_b64 v[44:45], v[43:44], off
	v_mov_b32_e32 v24, v61
	v_lshlrev_b64_e32 v[40:41], 3, v[41:42]
	s_delay_alu instid0(VALU_DEP_2) | instskip(SKIP_1) | instid1(VALU_DEP_3)
	v_mad_co_u64_u32 v[24:25], null, s19, v62, v[24:25]
	v_dual_mov_b32 v25, v66 :: v_dual_add_nc_u32 v62, 0x810, v110
	v_add_co_u32 v40, s0, v63, v40
	s_wait_alu 0xf1ff
	s_delay_alu instid0(VALU_DEP_4) | instskip(NEXT) | instid1(VALU_DEP_3)
	v_add_co_ci_u32_e64 v41, s0, v67, v41, s0
	v_mad_co_u64_u32 v[68:69], null, s19, v68, v[25:26]
	v_dual_mov_b32 v47, v64 :: v_dual_add_nc_u32 v64, 0x738, v110
	v_mad_co_u64_u32 v[69:70], null, s18, v62, 0
	s_delay_alu instid0(VALU_DEP_3) | instskip(NEXT) | instid1(VALU_DEP_3)
	v_dual_mov_b32 v61, v24 :: v_dual_mov_b32 v66, v68
	v_mad_co_u64_u32 v[42:43], null, s18, v64, 0
	s_delay_alu instid0(VALU_DEP_4) | instskip(NEXT) | instid1(VALU_DEP_3)
	v_lshlrev_b64_e32 v[46:47], 3, v[46:47]
	v_lshlrev_b64_e32 v[60:61], 3, v[60:61]
	s_delay_alu instid0(VALU_DEP_3) | instskip(NEXT) | instid1(VALU_DEP_3)
	v_mov_b32_e32 v25, v43
	v_add_co_u32 v46, s0, v63, v46
	s_wait_alu 0xf1ff
	s_delay_alu instid0(VALU_DEP_4) | instskip(NEXT) | instid1(VALU_DEP_3)
	v_add_co_ci_u32_e64 v47, s0, v67, v47, s0
	v_mad_co_u64_u32 v[24:25], null, s19, v64, v[25:26]
	v_mov_b32_e32 v25, v70
	v_lshlrev_b64_e32 v[64:65], 3, v[65:66]
                                        ; implicit-def: $vgpr66
	s_delay_alu instid0(VALU_DEP_2) | instskip(NEXT) | instid1(VALU_DEP_4)
	v_mad_co_u64_u32 v[70:71], null, s19, v62, v[25:26]
	v_mov_b32_e32 v43, v24
	v_add_co_u32 v24, s0, v63, v60
	s_wait_alu 0xf1ff
	v_add_co_ci_u32_e64 v25, s0, v67, v61, s0
	s_delay_alu instid0(VALU_DEP_3) | instskip(SKIP_4) | instid1(VALU_DEP_4)
	v_lshlrev_b64_e32 v[42:43], 3, v[42:43]
	v_add_co_u32 v60, s0, v63, v64
	s_wait_alu 0xf1ff
	v_add_co_ci_u32_e64 v61, s0, v67, v65, s0
	v_lshlrev_b64_e32 v[64:65], 3, v[69:70]
	v_add_co_u32 v42, s0, v63, v42
	s_wait_alu 0xf1ff
	v_add_co_ci_u32_e64 v43, s0, v67, v43, s0
                                        ; implicit-def: $vgpr62
	s_delay_alu instid0(VALU_DEP_3)
	v_add_co_u32 v68, s0, v63, v64
	s_wait_alu 0xf1ff
	v_add_co_ci_u32_e64 v69, s0, v67, v65, s0
	s_clause 0x5
	global_load_b64 v[78:79], v[40:41], off
	global_load_b64 v[70:71], v[46:47], off
	;; [unrolled: 1-line block ×6, first 2 shown]
                                        ; implicit-def: $vgpr24
                                        ; implicit-def: $vgpr40
                                        ; implicit-def: $vgpr46
                                        ; implicit-def: $vgpr42
                                        ; implicit-def: $vgpr68
	v_cmpx_gt_u32_e32 36, v110
	s_cbranch_execz .LBB0_14
; %bb.13:
	v_add_nc_u32_e32 v80, 0x264, v110
	v_add_nc_u32_e32 v82, 0x33c, v110
	;; [unrolled: 1-line block ×4, first 2 shown]
	s_delay_alu instid0(VALU_DEP_4) | instskip(SKIP_3) | instid1(VALU_DEP_3)
	v_mad_co_u64_u32 v[42:43], null, s18, v80, 0
	v_add_nc_u32_e32 v62, 0xb4, v110
	v_mad_co_u64_u32 v[46:47], null, s18, v82, 0
	v_add_nc_u32_e32 v66, 0x18c, v110
	v_mad_co_u64_u32 v[24:25], null, s18, v62, 0
	s_delay_alu instid0(VALU_DEP_1) | instskip(SKIP_3) | instid1(VALU_DEP_3)
	v_mad_co_u64_u32 v[68:69], null, s19, v62, v[25:26]
	v_mov_b32_e32 v25, v43
	v_mov_b32_e32 v43, v47
	v_mad_co_u64_u32 v[40:41], null, s18, v66, 0
	v_mad_co_u64_u32 v[80:81], null, s19, v80, v[25:26]
	v_mov_b32_e32 v25, v68
	s_delay_alu instid0(VALU_DEP_3) | instskip(SKIP_1) | instid1(VALU_DEP_3)
	v_mad_co_u64_u32 v[72:73], null, s19, v66, v[41:42]
	v_add_nc_u32_e32 v66, 0x414, v110
	v_lshlrev_b64_e32 v[24:25], 3, v[24:25]
	s_delay_alu instid0(VALU_DEP_3)
	v_mov_b32_e32 v41, v72
	s_wait_loadcnt 0x6
	v_mad_co_u64_u32 v[68:69], null, s19, v82, v[43:44]
	v_mov_b32_e32 v43, v80
	v_mad_co_u64_u32 v[72:73], null, s18, v66, 0
	v_lshlrev_b64_e32 v[40:41], 3, v[40:41]
	v_add_co_u32 v24, s0, v63, v24
	v_mov_b32_e32 v47, v68
	v_lshlrev_b64_e32 v[42:43], 3, v[42:43]
	s_wait_alu 0xf1ff
	v_add_co_ci_u32_e64 v25, s0, v67, v25, s0
	v_mov_b32_e32 v62, v73
	v_add_co_u32 v40, s0, v63, v40
	v_lshlrev_b64_e32 v[46:47], 3, v[46:47]
	s_wait_alu 0xf1ff
	v_add_co_ci_u32_e64 v41, s0, v67, v41, s0
	v_mad_co_u64_u32 v[68:69], null, s19, v66, v[62:63]
	v_add_nc_u32_e32 v84, 0x4ec, v110
	v_add_co_u32 v42, s0, v63, v42
	s_wait_alu 0xf1ff
	v_add_co_ci_u32_e64 v43, s0, v67, v43, s0
	v_add_co_u32 v82, s0, v63, v46
	v_mov_b32_e32 v73, v68
	v_mad_co_u64_u32 v[80:81], null, s18, v84, 0
	s_wait_alu 0xf1ff
	v_add_co_ci_u32_e64 v83, s0, v67, v47, s0
	s_delay_alu instid0(VALU_DEP_3) | instskip(NEXT) | instid1(VALU_DEP_3)
	v_lshlrev_b64_e32 v[72:73], 3, v[72:73]
	v_mov_b32_e32 v46, v81
	s_delay_alu instid0(VALU_DEP_2) | instskip(SKIP_1) | instid1(VALU_DEP_3)
	v_add_co_u32 v72, s0, v63, v72
	s_wait_alu 0xf1ff
	v_add_co_ci_u32_e64 v73, s0, v67, v73, s0
	s_delay_alu instid0(VALU_DEP_3)
	v_mad_co_u64_u32 v[84:85], null, s19, v84, v[46:47]
	v_add_nc_u32_e32 v66, 0x5c4, v110
	v_mad_co_u64_u32 v[85:86], null, s18, v87, 0
	s_clause 0x3
	global_load_b64 v[24:25], v[24:25], off
	global_load_b64 v[40:41], v[40:41], off
	;; [unrolled: 1-line block ×4, first 2 shown]
	v_mov_b32_e32 v81, v84
	v_mad_co_u64_u32 v[68:69], null, s18, v66, 0
	s_delay_alu instid0(VALU_DEP_2) | instskip(NEXT) | instid1(VALU_DEP_2)
	v_lshlrev_b64_e32 v[80:81], 3, v[80:81]
	v_mov_b32_e32 v62, v69
	s_delay_alu instid0(VALU_DEP_2) | instskip(SKIP_1) | instid1(VALU_DEP_3)
	v_add_co_u32 v80, s0, v63, v80
	s_wait_alu 0xf1ff
	v_add_co_ci_u32_e64 v81, s0, v67, v81, s0
	s_delay_alu instid0(VALU_DEP_3) | instskip(SKIP_3) | instid1(VALU_DEP_3)
	v_mad_co_u64_u32 v[82:83], null, s19, v66, v[62:63]
	v_add_nc_u32_e32 v66, 0x84c, v110
	v_mad_co_u64_u32 v[83:84], null, s18, v92, 0
	v_mov_b32_e32 v62, v86
	v_mad_co_u64_u32 v[90:91], null, s18, v66, 0
	v_mov_b32_e32 v69, v82
	s_delay_alu instid0(VALU_DEP_3) | instskip(SKIP_1) | instid1(VALU_DEP_3)
	v_mad_co_u64_u32 v[86:87], null, s19, v87, v[62:63]
	v_mov_b32_e32 v62, v84
	v_lshlrev_b64_e32 v[68:69], 3, v[68:69]
	s_delay_alu instid0(VALU_DEP_2) | instskip(SKIP_2) | instid1(VALU_DEP_2)
	v_mad_co_u64_u32 v[92:93], null, s19, v92, v[62:63]
	v_mov_b32_e32 v62, v91
	v_lshlrev_b64_e32 v[85:86], 3, v[85:86]
	v_mad_co_u64_u32 v[93:94], null, s19, v66, v[62:63]
	s_delay_alu instid0(VALU_DEP_4) | instskip(SKIP_3) | instid1(VALU_DEP_3)
	v_mov_b32_e32 v84, v92
	v_add_co_u32 v94, s0, v63, v68
	s_wait_alu 0xf1ff
	v_add_co_ci_u32_e64 v95, s0, v67, v69, s0
	v_lshlrev_b64_e32 v[68:69], 3, v[83:84]
	v_mov_b32_e32 v91, v93
	v_add_co_u32 v82, s0, v63, v85
	s_wait_alu 0xf1ff
	v_add_co_ci_u32_e64 v83, s0, v67, v86, s0
	s_delay_alu instid0(VALU_DEP_3) | instskip(SKIP_3) | instid1(VALU_DEP_3)
	v_lshlrev_b64_e32 v[84:85], 3, v[90:91]
	v_add_co_u32 v86, s0, v63, v68
	s_wait_alu 0xf1ff
	v_add_co_ci_u32_e64 v87, s0, v67, v69, s0
	v_add_co_u32 v62, s0, v63, v84
	s_wait_alu 0xf1ff
	v_add_co_ci_u32_e64 v63, s0, v67, v85, s0
	s_clause 0x5
	global_load_b64 v[72:73], v[72:73], off
	global_load_b64 v[68:69], v[80:81], off
	;; [unrolled: 1-line block ×6, first 2 shown]
.LBB0_14:
	s_wait_alu 0xfffe
	s_or_b32 exec_lo, exec_lo, s4
.LBB0_15:
	s_delay_alu instid0(SALU_CYCLE_1) | instskip(SKIP_3) | instid1(VALU_DEP_3)
	s_or_b32 exec_lo, exec_lo, s1
	v_dual_add_f32 v84, v18, v22 :: v_dual_sub_f32 v87, v23, v19
	v_dual_add_f32 v85, v6, v0 :: v_dual_sub_f32 v86, v7, v39
	v_sub_f32_e32 v94, v18, v38
	v_fma_f32 v90, -0.5, v84, v0
	s_wait_loadcnt 0xb
	s_delay_alu instid0(VALU_DEP_3)
	v_dual_sub_f32 v106, v56, v58 :: v_dual_add_f32 v85, v22, v85
	s_wait_loadcnt 0xa
	v_sub_f32_e32 v114, v32, v50
	v_sub_f32_e32 v111, v54, v50
	v_fmamk_f32 v95, v86, 0xbf737871, v90
	v_sub_f32_e32 v84, v38, v18
	v_fmac_f32_e32 v90, 0x3f737871, v86
	v_add_f32_e32 v108, v32, v10
	s_delay_alu instid0(VALU_DEP_4) | instskip(SKIP_1) | instid1(VALU_DEP_4)
	v_dual_add_f32 v112, v51, v33 :: v_dual_fmac_f32 v95, 0xbf167918, v87
	v_add_f32_e32 v92, v38, v6
	v_dual_sub_f32 v91, v6, v22 :: v_dual_fmac_f32 v90, 0x3f167918, v87
	v_sub_f32_e32 v116, v55, v51
	v_cmp_gt_u32_e64 s0, 36, v110
	s_delay_alu instid0(VALU_DEP_4) | instskip(NEXT) | instid1(VALU_DEP_4)
	v_dual_fmac_f32 v0, -0.5, v92 :: v_dual_add_f32 v85, v18, v85
	v_dual_sub_f32 v93, v22, v6 :: v_dual_add_f32 v84, v84, v91
	v_add_f32_e32 v99, v35, v9
	s_delay_alu instid0(VALU_DEP_3) | instskip(NEXT) | instid1(VALU_DEP_4)
	v_fmamk_f32 v96, v87, 0x3f737871, v0
	v_dual_fmac_f32 v0, 0xbf737871, v87 :: v_dual_add_f32 v97, v38, v85
	v_add_f32_e32 v85, v14, v16
	v_fmac_f32_e32 v95, 0x3e9e377a, v84
	s_delay_alu instid0(VALU_DEP_3) | instskip(SKIP_1) | instid1(VALU_DEP_4)
	v_dual_sub_f32 v101, v35, v15 :: v_dual_fmac_f32 v0, 0x3f167918, v86
	v_add_f32_e32 v107, v28, v4
	v_fma_f32 v91, -0.5, v85, v2
	v_dual_sub_f32 v85, v9, v35 :: v_dual_fmac_f32 v96, 0xbf167918, v86
	v_dual_add_f32 v87, v94, v93 :: v_dual_add_f32 v86, v8, v2
	v_add_f32_e32 v93, v34, v8
	v_sub_f32_e32 v94, v34, v14
	s_delay_alu instid0(VALU_DEP_4) | instskip(NEXT) | instid1(VALU_DEP_4)
	v_fmamk_f32 v92, v85, 0xbf737871, v91
	v_fmac_f32_e32 v96, 0x3e9e377a, v87
	v_dual_fmac_f32 v0, 0x3e9e377a, v87 :: v_dual_sub_f32 v87, v8, v16
	v_fmac_f32_e32 v90, 0x3e9e377a, v84
	v_dual_add_f32 v84, v16, v86 :: v_dual_fmac_f32 v91, 0x3f737871, v85
	v_sub_f32_e32 v86, v17, v15
	v_fmac_f32_e32 v2, -0.5, v93
	s_delay_alu instid0(VALU_DEP_3) | instskip(SKIP_1) | instid1(VALU_DEP_4)
	v_dual_add_f32 v93, v15, v17 :: v_dual_add_f32 v84, v14, v84
	v_add_f32_e32 v87, v94, v87
	v_fmac_f32_e32 v91, 0x3f167918, v86
	v_fmac_f32_e32 v92, 0xbf167918, v86
	s_delay_alu instid0(VALU_DEP_4) | instskip(SKIP_1) | instid1(VALU_DEP_4)
	v_fma_f32 v93, -0.5, v93, v3
	v_add_f32_e32 v98, v34, v84
	v_dual_sub_f32 v84, v8, v34 :: v_dual_fmac_f32 v91, 0x3e9e377a, v87
	s_delay_alu instid0(VALU_DEP_4) | instskip(SKIP_1) | instid1(VALU_DEP_3)
	v_dual_fmac_f32 v92, 0x3e9e377a, v87 :: v_dual_sub_f32 v87, v16, v8
	v_sub_f32_e32 v34, v14, v34
	v_fmamk_f32 v8, v84, 0x3f737871, v93
	v_sub_f32_e32 v100, v16, v14
	v_sub_f32_e32 v16, v9, v17
	v_fma_f32 v14, -0.5, v99, v3
	v_dual_add_f32 v34, v34, v87 :: v_dual_sub_f32 v87, v17, v9
	s_delay_alu instid0(VALU_DEP_4) | instskip(SKIP_3) | instid1(VALU_DEP_4)
	v_dual_fmac_f32 v8, 0x3f167918, v100 :: v_dual_sub_f32 v99, v15, v35
	v_fmamk_f32 v94, v86, 0x3f737871, v2
	v_fmac_f32_e32 v2, 0xbf737871, v86
	v_add_f32_e32 v86, v101, v16
	v_dual_sub_f32 v104, v97, v98 :: v_dual_add_f32 v87, v99, v87
	v_sub_f32_e32 v115, v27, v33
	s_delay_alu instid0(VALU_DEP_3) | instskip(NEXT) | instid1(VALU_DEP_1)
	v_dual_add_f32 v107, v30, v107 :: v_dual_fmac_f32 v8, 0x3e9e377a, v86
	v_add_f32_e32 v107, v56, v107
	s_delay_alu instid0(VALU_DEP_2) | instskip(SKIP_1) | instid1(VALU_DEP_1)
	v_mul_f32_e32 v99, 0xbf167918, v8
	v_fmac_f32_e32 v93, 0xbf737871, v84
	v_dual_fmac_f32 v94, 0xbf167918, v85 :: v_dual_fmac_f32 v93, 0xbf167918, v100
	s_delay_alu instid0(VALU_DEP_1) | instskip(NEXT) | instid1(VALU_DEP_4)
	v_fmac_f32_e32 v93, 0x3e9e377a, v86
	v_fmac_f32_e32 v99, 0x3f4f1bbd, v92
	s_delay_alu instid0(VALU_DEP_2) | instskip(NEXT) | instid1(VALU_DEP_4)
	v_mul_f32_e32 v105, 0xbf167918, v93
	v_fmac_f32_e32 v94, 0x3e9e377a, v34
	s_delay_alu instid0(VALU_DEP_2) | instskip(SKIP_1) | instid1(VALU_DEP_2)
	v_fmac_f32_e32 v105, 0xbf4f1bbd, v91
	v_fmamk_f32 v16, v100, 0xbf737871, v14
	v_dual_fmac_f32 v14, 0x3f737871, v100 :: v_dual_add_f32 v103, v90, v105
	s_delay_alu instid0(VALU_DEP_2) | instskip(NEXT) | instid1(VALU_DEP_2)
	v_fmac_f32_e32 v16, 0x3f167918, v84
	v_fmac_f32_e32 v14, 0xbf167918, v84
	v_add_f32_e32 v84, v98, v97
	v_dual_sub_f32 v97, v58, v56 :: v_dual_fmac_f32 v2, 0x3f167918, v85
	s_delay_alu instid0(VALU_DEP_4) | instskip(NEXT) | instid1(VALU_DEP_4)
	v_fmac_f32_e32 v16, 0x3e9e377a, v87
	v_fmac_f32_e32 v14, 0x3e9e377a, v87
	s_delay_alu instid0(VALU_DEP_3) | instskip(NEXT) | instid1(VALU_DEP_3)
	v_dual_add_f32 v85, v95, v99 :: v_dual_fmac_f32 v2, 0x3e9e377a, v34
	v_mul_f32_e32 v34, 0xbf737871, v16
	s_delay_alu instid0(VALU_DEP_1) | instskip(NEXT) | instid1(VALU_DEP_1)
	v_fmac_f32_e32 v34, 0x3e9e377a, v94
	v_sub_f32_e32 v87, v96, v34
	v_add_f32_e32 v101, v96, v34
	v_add_f32_e32 v34, v56, v30
	v_sub_f32_e32 v96, v28, v30
	s_delay_alu instid0(VALU_DEP_2) | instskip(SKIP_2) | instid1(VALU_DEP_4)
	v_fma_f32 v109, -0.5, v34, v4
	v_sub_f32_e32 v34, v29, v59
	v_add_f32_e32 v98, v58, v28
	v_dual_add_f32 v96, v97, v96 :: v_dual_sub_f32 v97, v31, v57
	s_delay_alu instid0(VALU_DEP_2) | instskip(NEXT) | instid1(VALU_DEP_4)
	v_fmac_f32_e32 v4, -0.5, v98
	v_fmamk_f32 v98, v34, 0xbf737871, v109
	v_dual_sub_f32 v86, v95, v99 :: v_dual_fmac_f32 v109, 0x3f737871, v34
	v_sub_f32_e32 v99, v30, v28
	s_delay_alu instid0(VALU_DEP_4)
	v_fmamk_f32 v113, v97, 0x3f737871, v4
	v_fmac_f32_e32 v4, 0xbf737871, v97
	v_fmac_f32_e32 v98, 0xbf167918, v97
	v_fmac_f32_e32 v109, 0x3f167918, v97
	v_add_f32_e32 v97, v106, v99
	v_fmac_f32_e32 v113, 0xbf167918, v34
	s_delay_alu instid0(VALU_DEP_4) | instskip(SKIP_2) | instid1(VALU_DEP_4)
	v_dual_sub_f32 v99, v27, v55 :: v_dual_fmac_f32 v98, 0x3e9e377a, v96
	v_fmac_f32_e32 v4, 0x3f167918, v34
	v_fmac_f32_e32 v109, 0x3e9e377a, v96
	v_dual_fmac_f32 v113, 0x3e9e377a, v97 :: v_dual_sub_f32 v96, v32, v26
	v_add_f32_e32 v34, v54, v26
	s_delay_alu instid0(VALU_DEP_4) | instskip(SKIP_4) | instid1(VALU_DEP_4)
	v_dual_fmac_f32 v4, 0x3e9e377a, v97 :: v_dual_sub_f32 v97, v50, v54
	v_mul_f32_e32 v100, 0xbf737871, v14
	v_sub_f32_e32 v106, v90, v105
	v_sub_f32_e32 v90, v33, v51
	v_mul_u32_u24_e32 v95, 10, v110
	v_dual_add_f32 v97, v97, v96 :: v_dual_fmac_f32 v100, 0xbe9e377a, v2
	s_delay_alu instid0(VALU_DEP_2) | instskip(NEXT) | instid1(VALU_DEP_2)
	v_lshl_add_u32 v95, v95, 2, 0
	v_add_f32_e32 v102, v0, v100
	v_sub_f32_e32 v105, v0, v100
	v_fma_f32 v0, -0.5, v34, v10
	v_add_f32_e32 v100, v50, v32
	s_delay_alu instid0(VALU_DEP_2) | instskip(SKIP_1) | instid1(VALU_DEP_3)
	v_fmamk_f32 v34, v90, 0xbf737871, v0
	v_fmac_f32_e32 v0, 0x3f737871, v90
	v_fmac_f32_e32 v10, -0.5, v100
	v_sub_f32_e32 v100, v26, v32
	v_fma_f32 v32, -0.5, v112, v11
	v_fmac_f32_e32 v34, 0xbf167918, v99
	v_fmac_f32_e32 v0, 0x3f167918, v99
	v_fmamk_f32 v96, v99, 0x3f737871, v10
	v_fmac_f32_e32 v10, 0xbf737871, v99
	s_delay_alu instid0(VALU_DEP_4) | instskip(NEXT) | instid1(VALU_DEP_4)
	v_dual_sub_f32 v99, v33, v27 :: v_dual_fmac_f32 v34, 0x3e9e377a, v97
	v_dual_fmac_f32 v0, 0x3e9e377a, v97 :: v_dual_add_f32 v97, v55, v27
	v_add_f32_e32 v111, v111, v100
	v_sub_f32_e32 v100, v51, v55
	v_sub_f32_e32 v112, v26, v54
	v_fmac_f32_e32 v96, 0xbf167918, v90
	v_fma_f32 v97, -0.5, v97, v11
	v_fmac_f32_e32 v10, 0x3f167918, v90
	v_add_f32_e32 v90, v100, v99
	v_fmamk_f32 v100, v112, 0xbf737871, v32
	s_delay_alu instid0(VALU_DEP_4) | instskip(SKIP_1) | instid1(VALU_DEP_3)
	v_dual_fmac_f32 v32, 0x3f737871, v112 :: v_dual_fmamk_f32 v99, v114, 0x3f737871, v97
	v_dual_fmac_f32 v97, 0xbf737871, v114 :: v_dual_add_f32 v26, v26, v108
	v_fmac_f32_e32 v100, 0x3f167918, v114
	s_delay_alu instid0(VALU_DEP_3) | instskip(NEXT) | instid1(VALU_DEP_4)
	v_fmac_f32_e32 v32, 0xbf167918, v114
	v_fmac_f32_e32 v99, 0x3f167918, v112
	s_delay_alu instid0(VALU_DEP_4) | instskip(SKIP_1) | instid1(VALU_DEP_3)
	v_dual_fmac_f32 v97, 0xbf167918, v112 :: v_dual_add_f32 v112, v116, v115
	v_add_f32_e32 v26, v54, v26
	v_dual_fmac_f32 v96, 0x3e9e377a, v111 :: v_dual_fmac_f32 v99, 0x3e9e377a, v90
	s_delay_alu instid0(VALU_DEP_3) | instskip(SKIP_2) | instid1(VALU_DEP_4)
	v_dual_fmac_f32 v97, 0x3e9e377a, v90 :: v_dual_fmac_f32 v100, 0x3e9e377a, v112
	v_fmac_f32_e32 v32, 0x3e9e377a, v112
	v_fmac_f32_e32 v10, 0x3e9e377a, v111
	v_dual_mul_f32 v111, 0xbf167918, v99 :: v_dual_add_f32 v26, v50, v26
	s_delay_alu instid0(VALU_DEP_4) | instskip(NEXT) | instid1(VALU_DEP_4)
	v_mul_f32_e32 v114, 0xbf737871, v100
	v_mul_f32_e32 v117, 0xbf737871, v32
	;; [unrolled: 1-line block ×3, first 2 shown]
	s_delay_alu instid0(VALU_DEP_4) | instskip(NEXT) | instid1(VALU_DEP_4)
	v_dual_add_f32 v54, v58, v107 :: v_dual_fmac_f32 v111, 0x3f4f1bbd, v34
	v_fmac_f32_e32 v114, 0x3e9e377a, v96
	s_delay_alu instid0(VALU_DEP_4) | instskip(SKIP_1) | instid1(VALU_DEP_4)
	v_fmac_f32_e32 v117, 0xbe9e377a, v10
	v_mul_i32_i24_e32 v90, 10, v88
	v_dual_fmac_f32 v50, 0xbf4f1bbd, v0 :: v_dual_add_f32 v107, v26, v54
	v_add_f32_e32 v108, v98, v111
	v_sub_f32_e32 v112, v113, v114
	v_dual_add_f32 v113, v113, v114 :: v_dual_add_f32 v114, v4, v117
	v_lshl_add_u32 v90, v90, 2, 0
	v_sub_f32_e32 v111, v98, v111
	v_sub_f32_e32 v116, v54, v26
	v_add_f32_e32 v115, v109, v50
	ds_store_2addr_b64 v95, v[84:85], v[101:102] offset1:1
	ds_store_2addr_b64 v95, v[103:104], v[86:87] offset0:2 offset1:3
	ds_store_b64 v95, v[105:106] offset:32
	ds_store_2addr_b64 v90, v[107:108], v[113:114] offset1:1
	ds_store_2addr_b64 v90, v[115:116], v[111:112] offset0:2 offset1:3
	s_wait_loadcnt 0x3
	v_add_f32_e32 v26, v74, v78
	v_dual_sub_f32 v85, v109, v50 :: v_dual_sub_f32 v84, v4, v117
	s_wait_loadcnt 0x0
	v_dual_sub_f32 v117, v67, v63 :: v_dual_sub_f32 v4, v52, v78
	v_sub_f32_e32 v50, v76, v74
	v_fma_f32 v54, -0.5, v26, v12
	v_sub_f32_e32 v26, v53, v77
	ds_store_b64 v90, v[84:85] offset:32
	v_add_f32_e32 v84, v76, v52
	v_add_f32_e32 v4, v50, v4
	v_dual_add_f32 v50, v52, v12 :: v_dual_fmamk_f32 v87, v26, 0xbf737871, v54
	s_delay_alu instid0(VALU_DEP_3) | instskip(SKIP_2) | instid1(VALU_DEP_3)
	v_dual_sub_f32 v85, v79, v75 :: v_dual_fmac_f32 v12, -0.5, v84
	v_fmac_f32_e32 v54, 0x3f737871, v26
	v_sub_f32_e32 v84, v78, v52
	v_dual_sub_f32 v86, v74, v76 :: v_dual_fmac_f32 v87, 0xbf167918, v85
	s_delay_alu instid0(VALU_DEP_4) | instskip(SKIP_2) | instid1(VALU_DEP_4)
	v_fmamk_f32 v98, v85, 0x3f737871, v12
	v_fmac_f32_e32 v12, 0xbf737871, v85
	v_dual_fmac_f32 v54, 0x3f167918, v85 :: v_dual_add_f32 v85, v64, v70
	v_add_f32_e32 v84, v86, v84
	s_delay_alu instid0(VALU_DEP_4) | instskip(NEXT) | instid1(VALU_DEP_4)
	v_fmac_f32_e32 v98, 0xbf167918, v26
	v_fmac_f32_e32 v12, 0x3f167918, v26
	;; [unrolled: 1-line block ×4, first 2 shown]
	v_fma_f32 v4, -0.5, v85, v36
	v_sub_f32_e32 v86, v45, v61
	v_fmac_f32_e32 v98, 0x3e9e377a, v84
	v_fmac_f32_e32 v12, 0x3e9e377a, v84
	v_sub_f32_e32 v84, v44, v70
	s_delay_alu instid0(VALU_DEP_4) | instskip(SKIP_2) | instid1(VALU_DEP_3)
	v_dual_sub_f32 v85, v60, v64 :: v_dual_fmamk_f32 v26, v86, 0xbf737871, v4
	v_dual_sub_f32 v101, v71, v65 :: v_dual_fmac_f32 v4, 0x3f737871, v86
	v_add_f32_e32 v102, v60, v44
	v_add_f32_e32 v85, v85, v84
	v_add_f32_e32 v104, v44, v36
	s_delay_alu instid0(VALU_DEP_4) | instskip(SKIP_3) | instid1(VALU_DEP_4)
	v_fmac_f32_e32 v26, 0xbf167918, v101
	v_fmac_f32_e32 v4, 0x3f167918, v101
	v_fmac_f32_e32 v36, -0.5, v102
	v_sub_f32_e32 v102, v70, v44
	v_dual_sub_f32 v103, v64, v60 :: v_dual_fmac_f32 v26, 0x3e9e377a, v85
	s_delay_alu instid0(VALU_DEP_4) | instskip(NEXT) | instid1(VALU_DEP_4)
	v_dual_fmac_f32 v4, 0x3e9e377a, v85 :: v_dual_add_f32 v85, v65, v71
	v_fmamk_f32 v84, v101, 0x3f737871, v36
	v_fmac_f32_e32 v36, 0xbf737871, v101
	v_dual_add_f32 v105, v61, v45 :: v_dual_sub_f32 v106, v44, v60
	s_delay_alu instid0(VALU_DEP_4)
	v_fma_f32 v85, -0.5, v85, v37
	v_add_f32_e32 v101, v103, v102
	v_fmac_f32_e32 v84, 0xbf167918, v86
	v_sub_f32_e32 v102, v45, v71
	v_dual_sub_f32 v103, v61, v65 :: v_dual_fmac_f32 v36, 0x3f167918, v86
	v_fma_f32 v86, -0.5, v105, v37
	v_sub_f32_e32 v105, v70, v64
	v_fmamk_f32 v44, v106, 0x3f737871, v85
	s_delay_alu instid0(VALU_DEP_4)
	v_add_f32_e32 v102, v103, v102
	v_fmac_f32_e32 v85, 0xbf737871, v106
	v_sub_f32_e32 v107, v71, v45
	v_sub_f32_e32 v108, v65, v61
	v_fmamk_f32 v103, v105, 0xbf737871, v86
	v_fmac_f32_e32 v44, 0x3f167918, v105
	v_fmac_f32_e32 v86, 0x3f737871, v105
	;; [unrolled: 1-line block ×3, first 2 shown]
	v_add_f32_e32 v105, v108, v107
	v_fmac_f32_e32 v103, 0x3f167918, v106
	v_add_f32_e32 v50, v78, v50
	v_add_f32_e32 v70, v70, v104
	v_fmac_f32_e32 v44, 0x3e9e377a, v102
	v_fmac_f32_e32 v86, 0xbf167918, v106
	s_delay_alu instid0(VALU_DEP_4) | instskip(NEXT) | instid1(VALU_DEP_4)
	v_dual_fmac_f32 v103, 0x3e9e377a, v105 :: v_dual_add_f32 v50, v74, v50
	v_add_f32_e32 v64, v64, v70
	s_delay_alu instid0(VALU_DEP_4) | instskip(SKIP_1) | instid1(VALU_DEP_4)
	v_mul_f32_e32 v70, 0xbf167918, v44
	v_fmac_f32_e32 v84, 0x3e9e377a, v101
	v_dual_fmac_f32 v36, 0x3e9e377a, v101 :: v_dual_add_f32 v101, v76, v50
	v_mul_f32_e32 v50, 0xbf737871, v103
	s_delay_alu instid0(VALU_DEP_4) | instskip(SKIP_2) | instid1(VALU_DEP_3)
	v_fmac_f32_e32 v70, 0x3f4f1bbd, v26
	v_dual_fmac_f32 v85, 0x3e9e377a, v102 :: v_dual_fmac_f32 v86, 0x3e9e377a, v105
	v_add_f32_e32 v60, v60, v64
	v_dual_fmac_f32 v50, 0x3e9e377a, v84 :: v_dual_add_f32 v105, v87, v70
	v_sub_f32_e32 v106, v87, v70
	v_add_f32_e32 v64, v66, v68
	v_mul_f32_e32 v70, 0xbf167918, v85
	v_dual_mul_f32 v113, 0xbf737871, v86 :: v_dual_add_f32 v104, v60, v101
	v_sub_f32_e32 v107, v98, v50
	v_add_f32_e32 v108, v98, v50
	v_fma_f32 v50, -0.5, v64, v40
	v_sub_f32_e32 v98, v43, v63
	v_fmac_f32_e32 v70, 0xbf4f1bbd, v4
	v_dual_sub_f32 v112, v101, v60 :: v_dual_add_f32 v101, v62, v42
	v_fmac_f32_e32 v113, 0xbe9e377a, v36
	v_sub_f32_e32 v87, v42, v68
	v_sub_f32_e32 v102, v62, v66
	v_fmamk_f32 v64, v98, 0xbf737871, v50
	v_dual_sub_f32 v60, v69, v67 :: v_dual_add_f32 v111, v54, v70
	v_fmac_f32_e32 v50, 0x3f737871, v98
	v_sub_f32_e32 v114, v54, v70
	v_fma_f32 v54, -0.5, v101, v40
	v_add_f32_e32 v109, v12, v113
	v_dual_add_f32 v87, v102, v87 :: v_dual_fmac_f32 v64, 0xbf167918, v60
	v_dual_sub_f32 v113, v12, v113 :: v_dual_fmac_f32 v50, 0x3f167918, v60
	v_sub_f32_e32 v12, v68, v42
	v_dual_sub_f32 v101, v66, v62 :: v_dual_fmamk_f32 v70, v60, 0x3f737871, v54
	v_fmac_f32_e32 v54, 0xbf737871, v60
	v_add_f32_e32 v60, v67, v69
	v_fmac_f32_e32 v64, 0x3e9e377a, v87
	v_fmac_f32_e32 v50, 0x3e9e377a, v87
	v_dual_add_f32 v12, v101, v12 :: v_dual_sub_f32 v101, v43, v69
	v_sub_f32_e32 v102, v63, v67
	v_fma_f32 v87, -0.5, v60, v41
	v_dual_sub_f32 v60, v42, v62 :: v_dual_add_f32 v115, v63, v43
	v_fmac_f32_e32 v70, 0xbf167918, v98
	v_fmac_f32_e32 v54, 0x3f167918, v98
	v_add_f32_e32 v116, v102, v101
	s_delay_alu instid0(VALU_DEP_4)
	v_fmamk_f32 v98, v60, 0x3f737871, v87
	v_fmac_f32_e32 v87, 0xbf737871, v60
	v_fma_f32 v102, -0.5, v115, v41
	v_dual_sub_f32 v115, v68, v66 :: v_dual_fmac_f32 v70, 0x3e9e377a, v12
	v_fmac_f32_e32 v54, 0x3e9e377a, v12
	v_mul_i32_i24_e32 v12, 10, v89
	s_delay_alu instid0(VALU_DEP_3) | instskip(SKIP_3) | instid1(VALU_DEP_4)
	v_fmac_f32_e32 v98, 0x3f167918, v115
	v_fmac_f32_e32 v87, 0xbf167918, v115
	v_fmamk_f32 v101, v115, 0xbf737871, v102
	v_fmac_f32_e32 v102, 0x3f737871, v115
	v_dual_sub_f32 v115, v69, v43 :: v_dual_fmac_f32 v98, 0x3e9e377a, v116
	s_delay_alu instid0(VALU_DEP_4) | instskip(NEXT) | instid1(VALU_DEP_4)
	v_fmac_f32_e32 v87, 0x3e9e377a, v116
	v_fmac_f32_e32 v101, 0x3f167918, v60
	s_delay_alu instid0(VALU_DEP_3)
	v_dual_fmac_f32 v102, 0xbf167918, v60 :: v_dual_add_f32 v115, v117, v115
	v_lshl_add_u32 v60, v12, 2, 0
	ds_store_2addr_b64 v60, v[104:105], v[108:109] offset1:1
	ds_store_2addr_b64 v60, v[111:112], v[106:107] offset0:2 offset1:3
	ds_store_b64 v60, v[113:114] offset:32
	v_fmac_f32_e32 v101, 0x3e9e377a, v115
	v_fmac_f32_e32 v102, 0x3e9e377a, v115
	s_and_saveexec_b32 s1, s0
	s_cbranch_execz .LBB0_17
; %bb.16:
	v_dual_add_f32 v12, v80, v72 :: v_dual_add_f32 v107, v82, v46
	v_dual_sub_f32 v104, v46, v72 :: v_dual_mul_f32 v111, 0xbf167918, v87
	v_dual_sub_f32 v105, v82, v80 :: v_dual_sub_f32 v106, v47, v83
	s_delay_alu instid0(VALU_DEP_3) | instskip(SKIP_2) | instid1(VALU_DEP_3)
	v_fma_f32 v12, -0.5, v12, v24
	v_dual_sub_f32 v108, v73, v81 :: v_dual_sub_f32 v109, v72, v46
	v_fma_f32 v113, -0.5, v107, v24
	v_dual_sub_f32 v107, v80, v82 :: v_dual_fmamk_f32 v112, v106, 0x3f737871, v12
	v_dual_add_f32 v24, v46, v24 :: v_dual_fmac_f32 v111, 0xbf4f1bbd, v50
	s_delay_alu instid0(VALU_DEP_2) | instskip(SKIP_3) | instid1(VALU_DEP_3)
	v_dual_fmamk_f32 v116, v108, 0xbf737871, v113 :: v_dual_add_f32 v107, v107, v109
	v_fmac_f32_e32 v113, 0x3f737871, v108
	v_dual_add_f32 v40, v42, v40 :: v_dual_mul_f32 v115, 0xbf737871, v102
	v_add_f32_e32 v104, v105, v104
	v_dual_add_f32 v24, v72, v24 :: v_dual_fmac_f32 v113, 0xbf167918, v106
	s_delay_alu instid0(VALU_DEP_3) | instskip(SKIP_1) | instid1(VALU_DEP_3)
	v_dual_add_f32 v40, v68, v40 :: v_dual_fmac_f32 v115, 0xbe9e377a, v54
	v_mul_f32_e32 v68, 0xbf167918, v98
	v_dual_add_f32 v24, v80, v24 :: v_dual_fmac_f32 v113, 0x3e9e377a, v107
	s_delay_alu instid0(VALU_DEP_3) | instskip(NEXT) | instid1(VALU_DEP_3)
	v_add_f32_e32 v40, v66, v40
	v_fmac_f32_e32 v68, 0x3f4f1bbd, v64
	s_delay_alu instid0(VALU_DEP_3) | instskip(NEXT) | instid1(VALU_DEP_3)
	v_add_f32_e32 v24, v82, v24
	v_add_f32_e32 v40, v62, v40
	v_mul_f32_e32 v42, 0xbf737871, v101
	s_delay_alu instid0(VALU_DEP_2) | instskip(NEXT) | instid1(VALU_DEP_2)
	v_dual_fmac_f32 v116, 0x3f167918, v106 :: v_dual_sub_f32 v109, v24, v40
	v_fmac_f32_e32 v42, 0x3e9e377a, v70
	v_fmac_f32_e32 v112, 0x3f167918, v108
	s_delay_alu instid0(VALU_DEP_2) | instskip(NEXT) | instid1(VALU_DEP_2)
	v_dual_fmac_f32 v116, 0x3e9e377a, v107 :: v_dual_sub_f32 v107, v113, v42
	v_fmac_f32_e32 v112, 0x3e9e377a, v104
	s_delay_alu instid0(VALU_DEP_1) | instskip(NEXT) | instid1(VALU_DEP_1)
	v_dual_fmac_f32 v12, 0xbf737871, v106 :: v_dual_sub_f32 v105, v112, v111
	v_fmac_f32_e32 v12, 0xbf167918, v108
	v_add_f32_e32 v108, v112, v111
	v_dual_add_f32 v112, v116, v115 :: v_dual_add_f32 v111, v113, v42
	v_add_f32_e32 v113, v40, v24
	s_delay_alu instid0(VALU_DEP_4) | instskip(SKIP_2) | instid1(VALU_DEP_3)
	v_fmac_f32_e32 v12, 0x3e9e377a, v104
	v_add_nc_u32_e32 v24, 0x1c20, v95
	v_sub_f32_e32 v104, v116, v115
	v_sub_f32_e32 v106, v12, v68
	v_add_f32_e32 v114, v12, v68
	v_add_nc_u32_e32 v12, 0x1c30, v95
	ds_store_2addr_b64 v12, v[108:109], v[106:107] offset1:1
	ds_store_2addr_b64 v24, v[113:114], v[111:112] offset1:1
	ds_store_b64 v95, v[104:105] offset:7232
.LBB0_17:
	s_wait_alu 0xfffe
	s_or_b32 exec_lo, exec_lo, s1
	v_dual_sub_f32 v6, v6, v38 :: v_dual_add_f32 v3, v9, v3
	v_add_f32_e32 v42, v39, v7
	v_sub_f32_e32 v18, v22, v18
	v_add_f32_e32 v24, v19, v23
	s_delay_alu instid0(VALU_DEP_4)
	v_dual_add_f32 v12, v7, v1 :: v_dual_add_f32 v3, v17, v3
	global_wb scope:SCOPE_SE
	s_wait_dscnt 0x0
	s_wait_kmcnt 0x0
	s_barrier_signal -1
	v_fma_f32 v24, -0.5, v24, v1
	v_dual_fmac_f32 v1, -0.5, v42 :: v_dual_add_f32 v12, v23, v12
	v_add_f32_e32 v3, v15, v3
	s_barrier_wait -1
	s_delay_alu instid0(VALU_DEP_3) | instskip(NEXT) | instid1(VALU_DEP_3)
	v_fmamk_f32 v22, v6, 0x3f737871, v24
	v_dual_fmamk_f32 v9, v18, 0xbf737871, v1 :: v_dual_sub_f32 v38, v7, v23
	v_sub_f32_e32 v7, v23, v7
	v_dual_sub_f32 v40, v39, v19 :: v_dual_fmac_f32 v1, 0x3f737871, v18
	s_delay_alu instid0(VALU_DEP_3) | instskip(NEXT) | instid1(VALU_DEP_2)
	v_dual_fmac_f32 v9, 0x3f167918, v6 :: v_dual_add_f32 v12, v19, v12
	v_dual_sub_f32 v19, v19, v39 :: v_dual_add_f32 v38, v40, v38
	v_fmac_f32_e32 v24, 0xbf737871, v6
	v_dual_fmac_f32 v22, 0x3f167918, v18 :: v_dual_add_f32 v3, v35, v3
	s_delay_alu instid0(VALU_DEP_3) | instskip(SKIP_2) | instid1(VALU_DEP_4)
	v_add_f32_e32 v7, v19, v7
	v_fmac_f32_e32 v1, 0xbf167918, v6
	v_mul_f32_e32 v15, 0x3f737871, v94
	v_fmac_f32_e32 v22, 0x3e9e377a, v38
	v_fmac_f32_e32 v24, 0xbf167918, v18
	v_dual_fmac_f32 v9, 0x3e9e377a, v7 :: v_dual_add_f32 v12, v39, v12
	v_fmac_f32_e32 v1, 0x3e9e377a, v7
	v_mul_f32_e32 v7, 0x3e9e377a, v14
	v_dual_fmac_f32 v15, 0x3e9e377a, v16 :: v_dual_add_f32 v14, v29, v5
	s_delay_alu instid0(VALU_DEP_4) | instskip(SKIP_1) | instid1(VALU_DEP_4)
	v_sub_f32_e32 v107, v12, v3
	v_dual_sub_f32 v16, v28, v58 :: v_dual_sub_f32 v17, v59, v57
	v_fma_f32 v2, 0x3f737871, v2, -v7
	v_dual_mul_f32 v6, 0x3f167918, v92 :: v_dual_add_f32 v7, v57, v31
	v_fmac_f32_e32 v24, 0x3e9e377a, v38
	s_delay_alu instid0(VALU_DEP_3) | instskip(NEXT) | instid1(VALU_DEP_3)
	v_dual_add_f32 v92, v3, v12 :: v_dual_add_f32 v105, v1, v2
	v_fmac_f32_e32 v6, 0x3f4f1bbd, v8
	v_mul_f32_e32 v8, 0x3f4f1bbd, v93
	v_dual_add_f32 v104, v9, v15 :: v_dual_add_f32 v3, v31, v14
	v_fma_f32 v7, -0.5, v7, v5
	s_delay_alu instid0(VALU_DEP_4) | instskip(NEXT) | instid1(VALU_DEP_4)
	v_add_f32_e32 v93, v22, v6
	v_fma_f32 v8, 0x3f167918, v91, -v8
	v_sub_f32_e32 v108, v22, v6
	v_dual_sub_f32 v12, v30, v56 :: v_dual_sub_f32 v111, v1, v2
	v_dual_fmamk_f32 v6, v16, 0x3f737871, v7 :: v_dual_add_f32 v3, v57, v3
	s_delay_alu instid0(VALU_DEP_4) | instskip(SKIP_1) | instid1(VALU_DEP_3)
	v_dual_add_f32 v106, v24, v8 :: v_dual_sub_f32 v109, v9, v15
	v_dual_add_f32 v9, v59, v29 :: v_dual_sub_f32 v14, v29, v31
	v_dual_fmac_f32 v6, 0x3f167918, v12 :: v_dual_add_f32 v1, v59, v3
	v_add_f32_e32 v3, v33, v11
	s_delay_alu instid0(VALU_DEP_3) | instskip(SKIP_2) | instid1(VALU_DEP_3)
	v_dual_fmac_f32 v5, -0.5, v9 :: v_dual_add_f32 v14, v17, v14
	v_fmac_f32_e32 v7, 0xbf737871, v16
	v_dual_sub_f32 v112, v24, v8 :: v_dual_sub_f32 v9, v57, v59
	v_dual_add_f32 v3, v27, v3 :: v_dual_fmac_f32 v6, 0x3e9e377a, v14
	s_delay_alu instid0(VALU_DEP_4) | instskip(SKIP_1) | instid1(VALU_DEP_3)
	v_fmamk_f32 v2, v12, 0xbf737871, v5
	v_dual_sub_f32 v8, v31, v29 :: v_dual_fmac_f32 v5, 0x3f737871, v12
	v_add_f32_e32 v3, v55, v3
	v_mul_f32_e32 v11, 0x3e9e377a, v32
	s_delay_alu instid0(VALU_DEP_4)
	v_fmac_f32_e32 v2, 0x3f167918, v16
	v_lshl_add_u32 v24, v110, 2, 0
	v_fmac_f32_e32 v5, 0xbf167918, v16
	v_add_f32_e32 v3, v51, v3
	v_fmac_f32_e32 v7, 0xbf167918, v12
	v_dual_add_f32 v8, v9, v8 :: v_dual_mul_f32 v9, 0x3f167918, v34
	v_mul_f32_e32 v12, 0x3f4f1bbd, v97
	v_fma_f32 v10, 0x3f737871, v10, -v11
	v_add_f32_e32 v11, v53, v13
	v_sub_f32_e32 v114, v1, v3
	global_inv scope:SCOPE_SE
	v_fma_f32 v0, 0x3f167918, v0, -v12
	v_dual_add_f32 v12, v75, v79 :: v_dual_fmac_f32 v5, 0x3e9e377a, v8
	v_fmac_f32_e32 v9, 0x3f4f1bbd, v99
	v_fmac_f32_e32 v2, 0x3e9e377a, v8
	v_mul_f32_e32 v8, 0x3f737871, v96
	v_add_f32_e32 v96, v3, v1
	v_add_f32_e32 v1, v79, v11
	v_fmac_f32_e32 v7, 0x3e9e377a, v14
	s_delay_alu instid0(VALU_DEP_4) | instskip(SKIP_1) | instid1(VALU_DEP_3)
	v_dual_sub_f32 v115, v5, v10 :: v_dual_fmac_f32 v8, 0x3e9e377a, v100
	v_dual_add_f32 v100, v5, v10 :: v_dual_add_f32 v97, v6, v9
	v_dual_sub_f32 v51, v6, v9 :: v_dual_sub_f32 v116, v7, v0
	v_dual_sub_f32 v6, v78, v74 :: v_dual_add_f32 v1, v75, v1
	v_sub_f32_e32 v3, v52, v76
	v_dual_sub_f32 v52, v2, v8 :: v_dual_add_f32 v5, v77, v53
	v_add_f32_e32 v113, v7, v0
	v_fma_f32 v55, -0.5, v12, v13
	v_dual_add_f32 v0, v77, v1 :: v_dual_add_f32 v99, v2, v8
	s_delay_alu instid0(VALU_DEP_4) | instskip(SKIP_1) | instid1(VALU_DEP_4)
	v_fmac_f32_e32 v13, -0.5, v5
	v_sub_f32_e32 v5, v79, v53
	v_fmamk_f32 v2, v3, 0x3f737871, v55
	v_dual_sub_f32 v7, v75, v77 :: v_dual_add_nc_u32 v12, 0x400, v24
	s_delay_alu instid0(VALU_DEP_4) | instskip(SKIP_1) | instid1(VALU_DEP_4)
	v_fmamk_f32 v58, v6, 0xbf737871, v13
	v_sub_f32_e32 v8, v53, v79
	v_dual_fmac_f32 v2, 0x3f167918, v6 :: v_dual_sub_f32 v9, v77, v75
	v_fmac_f32_e32 v55, 0xbf737871, v3
	s_delay_alu instid0(VALU_DEP_4) | instskip(SKIP_1) | instid1(VALU_DEP_4)
	v_dual_fmac_f32 v58, 0x3f167918, v3 :: v_dual_add_f32 v5, v7, v5
	v_mul_f32_e32 v53, 0x3f737871, v84
	v_add_f32_e32 v1, v9, v8
	v_add_f32_e32 v8, v45, v37
	v_add_nc_u32_e32 v40, 0x1400, v24
	s_delay_alu instid0(VALU_DEP_4)
	v_dual_fmac_f32 v58, 0x3e9e377a, v5 :: v_dual_fmac_f32 v53, 0x3e9e377a, v103
	v_fmac_f32_e32 v13, 0x3f737871, v6
	v_fmac_f32_e32 v55, 0xbf167918, v6
	;; [unrolled: 1-line block ×3, first 2 shown]
	v_mul_f32_e32 v6, 0x3f4f1bbd, v85
	v_sub_f32_e32 v118, v58, v53
	v_add_f32_e32 v76, v58, v53
	v_fmac_f32_e32 v55, 0x3e9e377a, v1
	v_fmac_f32_e32 v13, 0xbf167918, v3
	v_add_f32_e32 v3, v71, v8
	v_add_nc_u32_e32 v62, 0x1c00, v24
	v_add_nc_u32_e32 v74, 0xc00, v24
	v_add_nc_u32_e32 v75, 0x1800, v24
	v_add_nc_u32_e32 v85, 0x800, v24
	v_add_f32_e32 v1, v65, v3
	v_add_nc_u32_e32 v45, 0xa00, v24
	v_add_nc_u32_e32 v42, 0x600, v24
	;; [unrolled: 1-line block ×3, first 2 shown]
	v_mul_i32_i24_e32 v58, 0xffffffdc, v89
	v_add_f32_e32 v1, v61, v1
	v_fma_f32 v61, 0x3f167918, v4, -v6
	v_mul_f32_e32 v3, 0x3f167918, v26
	s_delay_alu instid0(VALU_DEP_2) | instskip(NEXT) | instid1(VALU_DEP_2)
	v_dual_add_f32 v65, v1, v0 :: v_dual_sub_f32 v120, v55, v61
	v_dual_fmac_f32 v3, 0x3f4f1bbd, v44 :: v_dual_add_f32 v78, v55, v61
	v_add_nc_u32_e32 v44, 0x1000, v24
	v_fmac_f32_e32 v13, 0x3e9e377a, v5
	v_mul_f32_e32 v5, 0x3e9e377a, v86
	v_sub_f32_e32 v79, v0, v1
	v_mad_i32_i24 v0, 0xffffffdc, v88, v90
	v_mad_i32_i24 v1, 0xffffffdc, v89, v60
	v_sub_f32_e32 v117, v2, v3
	v_fma_f32 v59, 0x3f737871, v36, -v5
	v_add_nc_u32_e32 v86, 0x1e00, v24
	v_add_f32_e32 v66, v2, v3
	ds_load_2addr_b32 v[2:3], v24 offset1:180
	ds_load_2addr_b32 v[38:39], v12 offset0:104 offset1:164
	ds_load_2addr_b32 v[36:37], v45 offset0:80 offset1:140
	;; [unrolled: 1-line block ×3, first 2 shown]
	v_sub_f32_e32 v119, v13, v59
	v_add_f32_e32 v77, v13, v59
	ds_load_2addr_b32 v[32:33], v40 offset0:160 offset1:220
	ds_load_2addr_b32 v[16:17], v62 offset0:8 offset1:68
	ds_load_b32 v57, v0
	ds_load_b32 v56, v1
	ds_load_2addr_b32 v[30:31], v42 offset0:96 offset1:156
	ds_load_2addr_b32 v[28:29], v74 offset0:72 offset1:132
	;; [unrolled: 1-line block ×11, first 2 shown]
	v_add_nc_u32_e32 v13, 0xb4, v110
	v_mul_i32_i24_e32 v59, 0xffffffdc, v88
	global_wb scope:SCOPE_SE
	s_wait_dscnt 0x0
	s_barrier_signal -1
	s_barrier_wait -1
	global_inv scope:SCOPE_SE
	ds_store_2addr_b64 v95, v[92:93], v[104:105] offset1:1
	ds_store_2addr_b64 v95, v[106:107], v[108:109] offset0:2 offset1:3
	ds_store_b64 v95, v[111:112] offset:32
	ds_store_2addr_b64 v90, v[96:97], v[99:100] offset1:1
	ds_store_2addr_b64 v90, v[113:114], v[51:52] offset0:2 offset1:3
	ds_store_b64 v90, v[115:116] offset:32
	;; [unrolled: 3-line block ×3, first 2 shown]
	s_and_saveexec_b32 s1, s0
	s_cbranch_execz .LBB0_19
; %bb.18:
	v_dual_add_f32 v52, v81, v73 :: v_dual_sub_f32 v65, v72, v80
	v_dual_add_f32 v51, v47, v25 :: v_dual_sub_f32 v46, v46, v82
	v_add_f32_e32 v41, v43, v41
	s_delay_alu instid0(VALU_DEP_3) | instskip(SKIP_3) | instid1(VALU_DEP_4)
	v_fma_f32 v61, -0.5, v52, v25
	v_sub_f32_e32 v53, v47, v73
	v_add_f32_e32 v52, v83, v47
	v_sub_f32_e32 v47, v73, v47
	v_dual_add_f32 v41, v69, v41 :: v_dual_fmamk_f32 v66, v46, 0x3f737871, v61
	v_fmac_f32_e32 v61, 0xbf737871, v46
	s_delay_alu instid0(VALU_DEP_4) | instskip(NEXT) | instid1(VALU_DEP_3)
	v_fmac_f32_e32 v25, -0.5, v52
	v_add_f32_e32 v41, v67, v41
	s_delay_alu instid0(VALU_DEP_4)
	v_fmac_f32_e32 v66, 0x3f167918, v65
	v_sub_f32_e32 v55, v83, v81
	v_add_f32_e32 v51, v73, v51
	v_fmac_f32_e32 v61, 0xbf167918, v65
	v_add_f32_e32 v41, v63, v41
	v_mul_u32_u24_e32 v67, 10, v13
	s_delay_alu instid0(VALU_DEP_4) | instskip(NEXT) | instid1(VALU_DEP_1)
	v_dual_add_f32 v52, v55, v53 :: v_dual_add_f32 v51, v81, v51
	v_dual_fmac_f32 v66, 0x3e9e377a, v52 :: v_dual_add_f32 v53, v83, v51
	v_sub_f32_e32 v51, v81, v83
	v_fmamk_f32 v55, v65, 0xbf737871, v25
	v_fmac_f32_e32 v25, 0x3f737871, v65
	v_fmac_f32_e32 v61, 0x3e9e377a, v52
	s_delay_alu instid0(VALU_DEP_4) | instskip(SKIP_2) | instid1(VALU_DEP_2)
	v_add_f32_e32 v43, v51, v47
	v_mul_f32_e32 v47, 0x3f4f1bbd, v87
	v_fmac_f32_e32 v55, 0x3f167918, v46
	v_fma_f32 v65, 0x3f167918, v50, -v47
	v_fmac_f32_e32 v25, 0xbf167918, v46
	v_mul_f32_e32 v46, 0x3e9e377a, v102
	s_delay_alu instid0(VALU_DEP_2) | instskip(NEXT) | instid1(VALU_DEP_2)
	v_dual_add_f32 v52, v61, v65 :: v_dual_fmac_f32 v25, 0x3e9e377a, v43
	v_fma_f32 v63, 0x3f737871, v54, -v46
	v_dual_add_f32 v46, v41, v53 :: v_dual_fmac_f32 v55, 0x3e9e377a, v43
	v_mul_f32_e32 v43, 0x3f167918, v64
	s_delay_alu instid0(VALU_DEP_3) | instskip(SKIP_2) | instid1(VALU_DEP_4)
	v_dual_mul_f32 v64, 0x3f737871, v70 :: v_dual_add_f32 v51, v25, v63
	v_sub_f32_e32 v53, v53, v41
	v_lshl_add_u32 v41, v67, 2, 0
	v_fmac_f32_e32 v43, 0x3f4f1bbd, v98
	s_delay_alu instid0(VALU_DEP_4) | instskip(NEXT) | instid1(VALU_DEP_1)
	v_dual_fmac_f32 v64, 0x3e9e377a, v101 :: v_dual_sub_f32 v63, v25, v63
	v_dual_add_f32 v47, v66, v43 :: v_dual_add_f32 v50, v55, v64
	v_dual_sub_f32 v54, v66, v43 :: v_dual_sub_f32 v55, v55, v64
	v_sub_f32_e32 v64, v61, v65
	ds_store_2addr_b64 v41, v[46:47], v[50:51] offset1:1
	ds_store_2addr_b64 v41, v[52:53], v[54:55] offset0:2 offset1:3
	ds_store_b64 v41, v[63:64] offset:32
.LBB0_19:
	s_wait_alu 0xfffe
	s_or_b32 exec_lo, exec_lo, s1
	v_and_b32_e32 v25, 0xff, v110
	v_and_b32_e32 v41, 0xff, v88
	global_wb scope:SCOPE_SE
	s_wait_dscnt 0x0
	s_barrier_signal -1
	s_barrier_wait -1
	v_mul_lo_u16 v25, 0xcd, v25
	v_mul_lo_u16 v41, 0xcd, v41
	global_inv scope:SCOPE_SE
	v_and_b32_e32 v43, 0xff, v89
	v_lshrrev_b16 v52, 11, v25
	v_lshrrev_b16 v50, 11, v41
	s_delay_alu instid0(VALU_DEP_2) | instskip(NEXT) | instid1(VALU_DEP_2)
	v_mul_lo_u16 v25, v52, 10
	v_mul_lo_u16 v41, v50, 10
	v_and_b32_e32 v52, 0xffff, v52
	s_delay_alu instid0(VALU_DEP_3) | instskip(NEXT) | instid1(VALU_DEP_3)
	v_sub_nc_u16 v25, v110, v25
	v_sub_nc_u16 v41, v88, v41
	s_delay_alu instid0(VALU_DEP_2) | instskip(NEXT) | instid1(VALU_DEP_2)
	v_and_b32_e32 v51, 0xff, v25
	v_and_b32_e32 v46, 0xff, v41
	s_delay_alu instid0(VALU_DEP_2) | instskip(NEXT) | instid1(VALU_DEP_2)
	v_mul_u32_u24_e32 v25, 5, v51
	v_mul_u32_u24_e32 v41, 5, v46
	s_delay_alu instid0(VALU_DEP_2) | instskip(NEXT) | instid1(VALU_DEP_2)
	v_lshlrev_b32_e32 v25, 3, v25
	v_lshlrev_b32_e32 v68, 3, v41
	s_clause 0x3
	global_load_b128 v[64:67], v25, s[8:9]
	global_load_b128 v[70:73], v68, s[8:9]
	global_load_b128 v[76:79], v25, s[8:9] offset:16
	global_load_b128 v[80:83], v68, s[8:9] offset:16
	v_mul_lo_u16 v41, 0xcd, v43
	s_delay_alu instid0(VALU_DEP_1) | instskip(NEXT) | instid1(VALU_DEP_1)
	v_lshrrev_b16 v47, 11, v41
	v_mul_lo_u16 v53, v47, 10
	s_delay_alu instid0(VALU_DEP_1) | instskip(NEXT) | instid1(VALU_DEP_1)
	v_sub_nc_u16 v55, v89, v53
	v_and_b32_e32 v55, 0xff, v55
	s_delay_alu instid0(VALU_DEP_1) | instskip(NEXT) | instid1(VALU_DEP_1)
	v_mul_u32_u24_e32 v61, 5, v55
	v_lshlrev_b32_e32 v87, 3, v61
	global_load_b128 v[91:94], v87, s[8:9]
	v_and_b32_e32 v41, 0xff, v13
	s_delay_alu instid0(VALU_DEP_1) | instskip(NEXT) | instid1(VALU_DEP_1)
	v_mul_lo_u16 v54, 0xcd, v41
	v_lshrrev_b16 v53, 11, v54
	s_delay_alu instid0(VALU_DEP_1) | instskip(NEXT) | instid1(VALU_DEP_1)
	v_mul_lo_u16 v54, v53, 10
	v_sub_nc_u16 v54, v13, v54
	s_delay_alu instid0(VALU_DEP_1) | instskip(NEXT) | instid1(VALU_DEP_1)
	v_and_b32_e32 v54, 0xff, v54
	v_mul_u32_u24_e32 v61, 5, v54
	s_delay_alu instid0(VALU_DEP_1)
	v_lshlrev_b32_e32 v109, 3, v61
	s_clause 0x2
	global_load_b128 v[95:98], v109, s[8:9]
	global_load_b128 v[99:102], v87, s[8:9] offset:16
	global_load_b128 v[103:106], v109, s[8:9] offset:16
	ds_load_2addr_b32 v[107:108], v12 offset0:104 offset1:164
	ds_load_2addr_b32 v[111:112], v45 offset0:80 offset1:140
	;; [unrolled: 1-line block ×4, first 2 shown]
	s_wait_loadcnt_dscnt 0x703
	v_mul_f32_e32 v63, v107, v65
	s_wait_dscnt 0x2
	v_mul_f32_e32 v119, v111, v67
	s_wait_loadcnt_dscnt 0x500
	v_dual_mul_f32 v124, v115, v79 :: v_dual_mul_f32 v121, v112, v73
	v_mul_f32_e32 v61, v108, v71
	v_mul_f32_e32 v123, v113, v77
	v_fmac_f32_e32 v119, v36, v66
	s_delay_alu instid0(VALU_DEP_4)
	v_fmac_f32_e32 v124, v32, v78
	global_load_b64 v[117:118], v25, s[8:9] offset:32
	v_mul_f32_e32 v25, v38, v65
	v_dual_mul_f32 v65, v36, v67 :: v_dual_add_nc_u32 v36, 0xf0, v110
	v_mul_f32_e32 v67, v32, v79
	s_wait_loadcnt 0x5
	v_mul_f32_e32 v125, v114, v81
	v_fma_f32 v69, v107, v64, -v25
	v_add_nc_u32_e32 v25, 0x12c, v110
	v_dual_fmac_f32 v63, v38, v64 :: v_dual_mul_f32 v64, v37, v73
	v_fma_f32 v120, v111, v66, -v65
	v_dual_mul_f32 v38, v39, v71 :: v_dual_fmac_f32 v123, v34, v76
	v_fma_f32 v115, v115, v78, -v67
	s_delay_alu instid0(VALU_DEP_4)
	v_fma_f32 v122, v112, v72, -v64
	ds_load_2addr_b32 v[111:112], v75 offset0:24 offset1:84
	v_fmac_f32_e32 v121, v37, v72
	global_load_b64 v[71:72], v68, s[8:9] offset:32
	v_dual_mul_f32 v64, v34, v77 :: v_dual_and_b32 v37, 0xffff, v36
	v_mul_f32_e32 v34, v35, v81
	v_fmac_f32_e32 v125, v35, v80
	v_mul_f32_e32 v127, v116, v83
	s_delay_alu instid0(VALU_DEP_4)
	v_mul_u32_u24_e32 v35, 0xcccd, v37
	v_mul_f32_e32 v67, v33, v83
	v_fma_f32 v128, v114, v80, -v34
	v_fma_f32 v126, v113, v76, -v64
	v_fmac_f32_e32 v127, v33, v82
	v_lshrrev_b32_e32 v34, 19, v35
	v_fma_f32 v35, v116, v82, -v67
	s_clause 0x1
	global_load_b64 v[82:83], v87, s[8:9] offset:32
	global_load_b64 v[113:114], v109, s[8:9] offset:32
	ds_load_2addr_b32 v[65:66], v74 offset0:72 offset1:132
	v_fmac_f32_e32 v61, v39, v70
	v_fma_f32 v70, v108, v70, -v38
	ds_load_2addr_b32 v[38:39], v42 offset0:96 offset1:156
	ds_load_2addr_b32 v[107:108], v44 offset0:176 offset1:236
	s_wait_loadcnt 0x7
	v_mul_f32_e32 v73, v28, v94
	s_wait_dscnt 0x2
	v_dual_mul_f32 v67, v30, v92 :: v_dual_mul_f32 v116, v65, v94
	s_delay_alu instid0(VALU_DEP_2) | instskip(SKIP_2) | instid1(VALU_DEP_3)
	v_fma_f32 v87, v65, v93, -v73
	s_wait_dscnt 0x1
	v_mul_f32_e32 v68, v38, v92
	v_fma_f32 v77, v38, v91, -v67
	v_fmac_f32_e32 v116, v28, v93
	v_and_b32_e32 v32, 0xffff, v25
	s_delay_alu instid0(VALU_DEP_4) | instskip(NEXT) | instid1(VALU_DEP_2)
	v_fmac_f32_e32 v68, v30, v91
	v_mul_u32_u24_e32 v64, 0xcccd, v32
	s_delay_alu instid0(VALU_DEP_1)
	v_lshrrev_b32_e32 v33, 19, v64
	v_mul_lo_u16 v64, v34, 10
	s_wait_loadcnt 0x6
	v_mul_f32_e32 v38, v31, v96
	v_mul_f32_e32 v65, v39, v96
	v_mul_f32_e32 v109, v66, v98
	v_mul_lo_u16 v28, v33, 10
	s_wait_loadcnt_dscnt 0x500
	v_mul_f32_e32 v129, v107, v100
	v_fma_f32 v73, v39, v95, -v38
	v_mul_f32_e32 v39, v29, v98
	v_fmac_f32_e32 v109, v29, v97
	v_sub_nc_u16 v28, v25, v28
	v_dual_mul_f32 v29, v26, v100 :: v_dual_mul_f32 v100, v111, v102
	s_delay_alu instid0(VALU_DEP_4) | instskip(NEXT) | instid1(VALU_DEP_3)
	v_fma_f32 v66, v66, v97, -v39
	v_dual_mul_f32 v39, v22, v102 :: v_dual_and_b32 v28, 0xffff, v28
	v_sub_nc_u16 v30, v36, v64
	s_delay_alu instid0(VALU_DEP_4)
	v_fmac_f32_e32 v100, v22, v101
	s_wait_loadcnt 0x4
	v_mul_f32_e32 v22, v27, v104
	v_fma_f32 v101, v111, v101, -v39
	v_mul_u32_u24_e32 v38, 5, v28
	v_and_b32_e32 v30, 0xffff, v30
	s_delay_alu instid0(VALU_DEP_2) | instskip(SKIP_4) | instid1(VALU_DEP_1)
	v_lshlrev_b32_e32 v102, 3, v38
	global_load_b128 v[91:94], v102, s[8:9]
	v_fmac_f32_e32 v129, v26, v99
	v_fma_f32 v99, v107, v99, -v29
	v_mul_f32_e32 v29, v108, v104
	v_dual_mul_f32 v104, v112, v106 :: v_dual_fmac_f32 v29, v27, v103
	v_fma_f32 v103, v108, v103, -v22
	v_mul_f32_e32 v22, v23, v106
	s_delay_alu instid0(VALU_DEP_3) | instskip(NEXT) | instid1(VALU_DEP_2)
	v_fmac_f32_e32 v104, v23, v105
	v_fma_f32 v106, v112, v105, -v22
	ds_load_2addr_b32 v[22:23], v62 offset0:8 offset1:68
	s_wait_loadcnt_dscnt 0x400
	v_mul_f32_e32 v107, v22, v118
	v_mul_f32_e32 v26, v16, v118
	s_delay_alu instid0(VALU_DEP_2) | instskip(NEXT) | instid1(VALU_DEP_2)
	v_fmac_f32_e32 v107, v16, v117
	v_fma_f32 v111, v22, v117, -v26
	ds_load_2addr_b32 v[26:27], v40 offset0:40 offset1:100
	s_wait_loadcnt 0x3
	v_mul_f32_e32 v112, v23, v72
	v_mul_f32_e32 v22, v17, v72
	s_delay_alu instid0(VALU_DEP_2)
	v_fmac_f32_e32 v112, v17, v71
	ds_load_2addr_b32 v[16:17], v62 offset0:128 offset1:188
	v_fma_f32 v117, v23, v71, -v22
	s_wait_loadcnt 0x2
	v_mul_f32_e32 v22, v18, v83
	v_fmac_f32_e32 v65, v31, v95
	v_mul_u32_u24_e32 v31, 5, v30
	s_delay_alu instid0(VALU_DEP_1)
	v_lshlrev_b32_e32 v31, 3, v31
	s_wait_dscnt 0x0
	v_mul_f32_e32 v118, v16, v83
	v_fma_f32 v131, v16, v82, -v22
	s_wait_loadcnt 0x1
	v_mul_f32_e32 v16, v19, v114
	s_clause 0x1
	global_load_b128 v[78:81], v31, s[8:9]
	global_load_b128 v[95:98], v31, s[8:9] offset:16
	v_mul_f32_e32 v130, v17, v114
	v_fmac_f32_e32 v118, v18, v82
	ds_load_2addr_b32 v[22:23], v85 offset0:88 offset1:148
	global_load_b64 v[38:39], v31, s[8:9] offset:32
	ds_load_2addr_b32 v[82:83], v75 offset0:144 offset1:204
	v_fmac_f32_e32 v130, v19, v113
	ds_load_2addr_b32 v[18:19], v74 offset0:192 offset1:252
	v_fma_f32 v113, v17, v113, -v16
	v_sub_f32_e32 v114, v116, v100
	s_wait_loadcnt 0x2
	v_mul_f32_e32 v16, v14, v79
	s_wait_dscnt 0x2
	v_mul_f32_e32 v64, v22, v79
	v_mul_f32_e32 v17, v10, v81
	s_wait_loadcnt 0x1
	v_mul_f32_e32 v76, v26, v96
	s_wait_dscnt 0x0
	v_mul_f32_e32 v71, v18, v81
	v_fma_f32 v67, v22, v78, -v16
	v_mul_f32_e32 v16, v19, v94
	v_fmac_f32_e32 v64, v14, v78
	s_delay_alu instid0(VALU_DEP_4) | instskip(SKIP_1) | instid1(VALU_DEP_4)
	v_dual_fmac_f32 v76, v8, v95 :: v_dual_fmac_f32 v71, v10, v80
	v_fma_f32 v72, v18, v80, -v17
	v_fmac_f32_e32 v16, v11, v93
	v_dual_mul_f32 v11, v11, v94 :: v_dual_add_nc_u32 v22, v90, v59
	v_mul_f32_e32 v10, v23, v92
	v_dual_mul_f32 v14, v15, v92 :: v_dual_mul_f32 v81, v82, v98
	s_delay_alu instid0(VALU_DEP_3) | instskip(NEXT) | instid1(VALU_DEP_3)
	v_fma_f32 v17, v19, v93, -v11
	v_dual_mul_f32 v11, v8, v96 :: v_dual_fmac_f32 v10, v15, v91
	s_delay_alu instid0(VALU_DEP_3) | instskip(SKIP_2) | instid1(VALU_DEP_4)
	v_fma_f32 v14, v23, v91, -v14
	v_mul_f32_e32 v15, v4, v98
	v_fmac_f32_e32 v81, v4, v97
	v_fma_f32 v79, v26, v95, -v11
	s_clause 0x1
	global_load_b128 v[91:94], v102, s[8:9] offset:16
	global_load_b64 v[95:96], v102, s[8:9] offset:32
	v_dual_sub_f32 v58, v119, v124 :: v_dual_add_nc_u32 v23, v60, v58
	v_fma_f32 v82, v82, v97, -v15
	ds_load_2addr_b32 v[97:98], v86 offset0:120 offset1:180
	v_dual_add_f32 v90, v69, v126 :: v_dual_add_f32 v59, v63, v123
	s_delay_alu instid0(VALU_DEP_1)
	v_add_f32_e32 v90, v90, v111
	s_wait_loadcnt_dscnt 0x200
	v_mul_f32_e32 v105, v97, v39
	s_wait_loadcnt 0x1
	v_mul_f32_e32 v11, v27, v92
	v_mul_f32_e32 v4, v9, v92
	;; [unrolled: 1-line block ×4, first 2 shown]
	v_sub_f32_e32 v92, v123, v107
	v_fmac_f32_e32 v11, v9, v91
	v_fma_f32 v15, v27, v91, -v4
	ds_load_2addr_b32 v[8:9], v24 offset1:180
	v_fmac_f32_e32 v26, v5, v93
	ds_load_2addr_b32 v[4:5], v84 offset0:112 offset1:172
	ds_load_b32 v78, v22
	ds_load_b32 v80, v23
	s_wait_loadcnt 0x0
	v_dual_mul_f32 v19, v98, v96 :: v_dual_add_f32 v94, v121, v127
	v_add_f32_e32 v60, v123, v107
	v_dual_mul_f32 v31, v7, v96 :: v_dual_add_f32 v96, v122, v35
	s_delay_alu instid0(VALU_DEP_3) | instskip(SKIP_1) | instid1(VALU_DEP_4)
	v_fmac_f32_e32 v19, v7, v95
	v_add_f32_e32 v7, v2, v119
	v_fmac_f32_e32 v63, -0.5, v60
	v_fma_f32 v18, v83, v93, -v18
	v_mul_f32_e32 v27, v6, v39
	v_add_f32_e32 v39, v120, v115
	v_sub_f32_e32 v83, v126, v111
	global_wb scope:SCOPE_SE
	s_wait_dscnt 0x0
	s_barrier_signal -1
	s_barrier_wait -1
	global_inv scope:SCOPE_SE
	v_add_f32_e32 v60, v78, v122
	v_fmac_f32_e32 v78, -0.5, v96
	v_add_f32_e32 v93, v7, v124
	v_add_f32_e32 v7, v57, v121
	v_dual_fmac_f32 v57, -0.5, v94 :: v_dual_add_f32 v94, v128, v117
	v_fmac_f32_e32 v105, v6, v38
	v_fma_f32 v6, v98, v95, -v31
	v_sub_f32_e32 v95, v122, v35
	v_add_f32_e32 v35, v60, v35
	v_add_f32_e32 v60, v56, v116
	v_dual_add_f32 v96, v116, v100 :: v_dual_add_f32 v91, v126, v111
	v_dual_add_f32 v59, v59, v107 :: v_dual_add_f32 v98, v61, v125
	v_fma_f32 v108, v97, v38, -v27
	s_delay_alu instid0(VALU_DEP_3)
	v_fmac_f32_e32 v56, -0.5, v96
	v_add_f32_e32 v38, v8, v120
	v_dual_sub_f32 v107, v128, v117 :: v_dual_add_f32 v96, v77, v99
	v_add_f32_e32 v60, v60, v100
	v_dual_add_f32 v102, v7, v127 :: v_dual_add_f32 v7, v70, v128
	v_add_f32_e32 v27, v119, v124
	v_dual_sub_f32 v31, v120, v115 :: v_dual_add_f32 v98, v98, v112
	v_add_f32_e32 v38, v38, v115
	v_fmac_f32_e32 v70, -0.5, v94
	v_dual_add_f32 v94, v129, v118 :: v_dual_fmac_f32 v69, -0.5, v91
	v_dual_add_f32 v91, v125, v112 :: v_dual_sub_f32 v100, v99, v131
	v_sub_f32_e32 v116, v129, v118
	v_dual_add_f32 v96, v96, v131 :: v_dual_add_f32 v115, v7, v117
	v_add_f32_e32 v7, v68, v129
	v_dual_sub_f32 v111, v125, v112 :: v_dual_sub_f32 v112, v87, v101
	v_dual_fmac_f32 v61, -0.5, v91 :: v_dual_fmac_f32 v68, -0.5, v94
	s_delay_alu instid0(VALU_DEP_3)
	v_add_f32_e32 v117, v7, v118
	v_add_f32_e32 v7, v9, v66
	;; [unrolled: 1-line block ×3, first 2 shown]
	v_fma_f32 v120, -0.5, v27, v2
	v_add_f32_e32 v87, v87, v101
	v_dual_sub_f32 v97, v121, v127 :: v_dual_sub_f32 v118, v66, v106
	v_add_f32_e32 v66, v66, v106
	v_add_f32_e32 v122, v7, v106
	;; [unrolled: 1-line block ×3, first 2 shown]
	v_dual_add_f32 v101, v3, v109 :: v_dual_fmac_f32 v80, -0.5, v87
	v_add_f32_e32 v87, v109, v104
	v_dual_add_f32 v99, v99, v131 :: v_dual_sub_f32 v94, v109, v104
	v_fma_f32 v121, -0.5, v39, v8
	s_delay_alu instid0(VALU_DEP_4) | instskip(NEXT) | instid1(VALU_DEP_4)
	v_dual_add_f32 v8, v102, v98 :: v_dual_add_f32 v119, v101, v104
	v_dual_fmac_f32 v3, -0.5, v87 :: v_dual_sub_f32 v104, v29, v130
	v_add_f32_e32 v87, v73, v103
	v_fmac_f32_e32 v9, -0.5, v66
	v_sub_f32_e32 v101, v103, v113
	v_add_f32_e32 v103, v103, v113
	v_add_f32_e32 v109, v65, v29
	;; [unrolled: 1-line block ×3, first 2 shown]
	v_dual_sub_f32 v2, v93, v59 :: v_dual_fmamk_f32 v93, v107, 0xbf5db3d7, v61
	s_delay_alu instid0(VALU_DEP_4)
	v_fmac_f32_e32 v73, -0.5, v103
	v_fmamk_f32 v103, v83, 0xbf5db3d7, v63
	v_fmac_f32_e32 v63, 0x3f5db3d7, v83
	v_fmamk_f32 v83, v92, 0x3f5db3d7, v69
	v_fmac_f32_e32 v61, 0x3f5db3d7, v107
	v_fmac_f32_e32 v69, 0xbf5db3d7, v92
	v_dual_fmamk_f32 v92, v97, 0x3f5db3d7, v78 :: v_dual_fmac_f32 v77, -0.5, v99
	v_dual_add_f32 v99, v29, v130 :: v_dual_fmac_f32 v78, 0xbf5db3d7, v97
	v_fmamk_f32 v97, v100, 0xbf5db3d7, v68
	v_dual_fmac_f32 v68, 0x3f5db3d7, v100 :: v_dual_add_f32 v27, v38, v90
	v_dual_sub_f32 v29, v38, v90 :: v_dual_fmamk_f32 v90, v95, 0xbf5db3d7, v57
	v_fmac_f32_e32 v57, 0x3f5db3d7, v95
	v_fmamk_f32 v95, v111, 0x3f5db3d7, v70
	v_fmac_f32_e32 v70, 0xbf5db3d7, v111
	v_fmamk_f32 v111, v114, 0x3f5db3d7, v80
	v_dual_fmac_f32 v80, 0xbf5db3d7, v114 :: v_dual_fmac_f32 v65, -0.5, v99
	s_delay_alu instid0(VALU_DEP_3) | instskip(SKIP_4) | instid1(VALU_DEP_4)
	v_dual_fmamk_f32 v99, v58, 0x3f5db3d7, v121 :: v_dual_mul_f32 v114, -0.5, v70
	v_dual_fmamk_f32 v100, v104, 0x3f5db3d7, v73 :: v_dual_add_f32 v113, v87, v113
	v_dual_fmac_f32 v73, 0xbf5db3d7, v104 :: v_dual_mul_f32 v104, 0xbf5db3d7, v95
	v_add_f32_e32 v38, v91, v96
	v_sub_f32_e32 v39, v91, v96
	v_mul_f32_e32 v124, 0xbf5db3d7, v100
	s_delay_alu instid0(VALU_DEP_4)
	v_mul_f32_e32 v126, -0.5, v73
	v_dual_fmac_f32 v104, 0.5, v93 :: v_dual_fmac_f32 v121, 0xbf5db3d7, v58
	v_sub_f32_e32 v58, v102, v98
	v_fmamk_f32 v98, v116, 0x3f5db3d7, v77
	v_fmac_f32_e32 v77, 0xbf5db3d7, v116
	v_add_f32_e32 v123, v109, v130
	v_fmamk_f32 v87, v31, 0xbf5db3d7, v120
	v_dual_fmac_f32 v120, 0x3f5db3d7, v31 :: v_dual_mul_f32 v125, 0.5, v100
	s_delay_alu instid0(VALU_DEP_4) | instskip(SKIP_3) | instid1(VALU_DEP_4)
	v_dual_mul_f32 v116, 0xbf5db3d7, v77 :: v_dual_fmamk_f32 v109, v112, 0xbf5db3d7, v56
	v_fmac_f32_e32 v56, 0x3f5db3d7, v112
	v_dual_mul_f32 v112, 0xbf5db3d7, v70 :: v_dual_add_f32 v59, v60, v117
	v_dual_sub_f32 v60, v60, v117 :: v_dual_mul_f32 v117, 0.5, v98
	v_fmac_f32_e32 v116, -0.5, v68
	s_delay_alu instid0(VALU_DEP_3)
	v_fmac_f32_e32 v112, -0.5, v61
	v_mul_f32_e32 v102, 0xbf5db3d7, v69
	v_mul_f32_e32 v69, -0.5, v69
	v_fmamk_f32 v91, v118, 0xbf5db3d7, v3
	v_dual_fmac_f32 v3, 0x3f5db3d7, v118 :: v_dual_add_f32 v66, v119, v123
	v_fmamk_f32 v96, v94, 0x3f5db3d7, v9
	s_delay_alu instid0(VALU_DEP_4)
	v_dual_mul_f32 v118, -0.5, v77 :: v_dual_fmac_f32 v69, 0x3f5db3d7, v63
	v_fmac_f32_e32 v117, 0x3f5db3d7, v97
	v_fmac_f32_e32 v9, 0xbf5db3d7, v94
	v_fmamk_f32 v94, v101, 0xbf5db3d7, v65
	v_dual_fmac_f32 v65, 0x3f5db3d7, v101 :: v_dual_fmac_f32 v102, -0.5, v63
	v_fmac_f32_e32 v118, 0x3f5db3d7, v68
	v_dual_sub_f32 v68, v121, v69 :: v_dual_mul_f32 v95, 0.5, v95
	s_delay_alu instid0(VALU_DEP_3)
	v_fmac_f32_e32 v126, 0x3f5db3d7, v65
	v_mul_f32_e32 v101, 0xbf5db3d7, v83
	v_dual_mul_f32 v83, 0.5, v83 :: v_dual_fmac_f32 v114, 0x3f5db3d7, v61
	v_add_f32_e32 v31, v35, v115
	v_dual_sub_f32 v35, v35, v115 :: v_dual_sub_f32 v100, v90, v104
	v_mul_f32_e32 v115, 0xbf5db3d7, v98
	s_delay_alu instid0(VALU_DEP_4)
	v_dual_fmac_f32 v83, 0x3f5db3d7, v103 :: v_dual_fmac_f32 v124, 0.5, v94
	v_dual_add_f32 v98, v120, v102 :: v_dual_fmac_f32 v95, 0x3f5db3d7, v93
	v_dual_mul_f32 v93, 0xbf5db3d7, v73 :: v_dual_add_f32 v70, v78, v114
	v_dual_sub_f32 v73, v78, v114 :: v_dual_add_f32 v114, v0, v71
	v_fmac_f32_e32 v101, 0.5, v103
	v_fmac_f32_e32 v115, 0.5, v97
	v_fmac_f32_e32 v125, 0x3f5db3d7, v94
	v_add_f32_e32 v61, v99, v83
	v_add_f32_e32 v63, v121, v69
	v_sub_f32_e32 v107, v120, v102
	v_add_f32_e32 v97, v57, v112
	v_dual_sub_f32 v102, v57, v112 :: v_dual_sub_f32 v57, v92, v95
	v_dual_add_f32 v77, v111, v117 :: v_dual_sub_f32 v94, v56, v116
	v_sub_f32_e32 v112, v119, v123
	v_add_f32_e32 v114, v114, v81
	v_fmac_f32_e32 v93, -0.5, v65
	v_sub_f32_e32 v65, v99, v83
	v_add_f32_e32 v99, v90, v104
	v_add_f32_e32 v69, v92, v95
	;; [unrolled: 1-line block ×3, first 2 shown]
	v_sub_f32_e32 v56, v111, v117
	v_add_f32_e32 v95, v91, v124
	v_add_f32_e32 v83, v122, v113
	v_sub_f32_e32 v111, v91, v124
	v_sub_f32_e32 v91, v122, v113
	v_add_f32_e32 v113, v71, v81
	v_add_f32_e32 v106, v87, v101
	v_sub_f32_e32 v101, v87, v101
	v_add_f32_e32 v103, v109, v115
	v_dual_sub_f32 v92, v109, v115 :: v_dual_add_f32 v109, v3, v93
	v_dual_add_f32 v87, v96, v125 :: v_dual_add_f32 v90, v9, v126
	v_sub_f32_e32 v3, v3, v93
	v_dual_sub_f32 v93, v96, v125 :: v_dual_sub_f32 v96, v9, v126
	v_add_f32_e32 v9, v72, v82
	v_fma_f32 v113, -0.5, v113, v0
	v_sub_f32_e32 v0, v72, v82
	v_add_f32_e32 v72, v4, v72
	v_add_f32_e32 v78, v80, v118
	v_fma_f32 v115, -0.5, v9, v4
	s_delay_alu instid0(VALU_DEP_4)
	v_dual_sub_f32 v4, v71, v81 :: v_dual_fmamk_f32 v71, v0, 0xbf5db3d7, v113
	v_fmac_f32_e32 v113, 0x3f5db3d7, v0
	v_add_f32_e32 v0, v79, v108
	v_add_f32_e32 v82, v72, v82
	v_dual_add_f32 v9, v76, v105 :: v_dual_add_f32 v72, v67, v79
	v_fmamk_f32 v116, v4, 0x3f5db3d7, v115
	s_delay_alu instid0(VALU_DEP_4) | instskip(SKIP_1) | instid1(VALU_DEP_4)
	v_dual_fmac_f32 v67, -0.5, v0 :: v_dual_sub_f32 v0, v76, v105
	v_add_f32_e32 v76, v64, v76
	v_dual_fmac_f32 v64, -0.5, v9 :: v_dual_sub_f32 v9, v79, v108
	v_fmac_f32_e32 v115, 0xbf5db3d7, v4
	s_delay_alu instid0(VALU_DEP_4) | instskip(NEXT) | instid1(VALU_DEP_4)
	v_fmamk_f32 v4, v0, 0x3f5db3d7, v67
	v_dual_fmac_f32 v67, 0xbf5db3d7, v0 :: v_dual_add_f32 v76, v76, v105
	s_delay_alu instid0(VALU_DEP_4) | instskip(SKIP_1) | instid1(VALU_DEP_4)
	v_fmamk_f32 v79, v9, 0xbf5db3d7, v64
	v_fmac_f32_e32 v64, 0x3f5db3d7, v9
	v_mul_f32_e32 v81, 0xbf5db3d7, v4
	s_delay_alu instid0(VALU_DEP_4) | instskip(SKIP_1) | instid1(VALU_DEP_3)
	v_dual_mul_f32 v105, 0xbf5db3d7, v67 :: v_dual_add_f32 v108, v72, v108
	v_dual_mul_f32 v117, 0.5, v4 :: v_dual_sub_f32 v80, v80, v118
	v_fmac_f32_e32 v81, 0.5, v79
	s_delay_alu instid0(VALU_DEP_3) | instskip(NEXT) | instid1(VALU_DEP_3)
	v_fmac_f32_e32 v105, -0.5, v64
	v_dual_add_f32 v4, v82, v108 :: v_dual_fmac_f32 v117, 0x3f5db3d7, v79
	s_delay_alu instid0(VALU_DEP_3)
	v_dual_add_f32 v0, v114, v76 :: v_dual_add_f32 v9, v71, v81
	v_sub_f32_e32 v79, v71, v81
	v_dual_sub_f32 v71, v82, v108 :: v_dual_add_f32 v82, v16, v26
	v_add_f32_e32 v72, v113, v105
	v_sub_f32_e32 v81, v113, v105
	v_add_f32_e32 v105, v1, v16
	v_add_f32_e32 v108, v17, v18
	v_fmac_f32_e32 v1, -0.5, v82
	v_sub_f32_e32 v82, v17, v18
	v_sub_f32_e32 v16, v16, v26
	v_add_f32_e32 v105, v105, v26
	v_add_f32_e32 v17, v5, v17
	v_fmac_f32_e32 v5, -0.5, v108
	v_fmamk_f32 v26, v82, 0xbf5db3d7, v1
	v_fmac_f32_e32 v1, 0x3f5db3d7, v82
	v_add_f32_e32 v82, v15, v6
	v_add_f32_e32 v108, v11, v19
	;; [unrolled: 1-line block ×3, first 2 shown]
	v_dual_add_f32 v17, v17, v18 :: v_dual_fmamk_f32 v18, v16, 0x3f5db3d7, v5
	s_delay_alu instid0(VALU_DEP_4) | instskip(SKIP_4) | instid1(VALU_DEP_4)
	v_fmac_f32_e32 v14, -0.5, v82
	v_sub_f32_e32 v82, v11, v19
	v_dual_add_f32 v11, v10, v11 :: v_dual_fmac_f32 v10, -0.5, v108
	v_sub_f32_e32 v15, v15, v6
	v_fmac_f32_e32 v5, 0xbf5db3d7, v16
	v_fmamk_f32 v16, v82, 0x3f5db3d7, v14
	s_delay_alu instid0(VALU_DEP_4) | instskip(NEXT) | instid1(VALU_DEP_4)
	v_dual_fmac_f32 v14, 0xbf5db3d7, v82 :: v_dual_add_f32 v11, v11, v19
	v_fmamk_f32 v19, v15, 0xbf5db3d7, v10
	v_fmac_f32_e32 v10, 0x3f5db3d7, v15
	s_delay_alu instid0(VALU_DEP_3) | instskip(SKIP_2) | instid1(VALU_DEP_3)
	v_dual_mul_f32 v15, 0xbf5db3d7, v16 :: v_dual_mul_f32 v82, 0xbf5db3d7, v14
	v_add_f32_e32 v6, v113, v6
	v_mul_f32_e32 v14, -0.5, v14
	v_dual_mul_f32 v16, 0.5, v16 :: v_dual_fmac_f32 v15, 0.5, v19
	s_delay_alu instid0(VALU_DEP_4) | instskip(SKIP_1) | instid1(VALU_DEP_4)
	v_fmac_f32_e32 v82, -0.5, v10
	v_sub_f32_e32 v76, v114, v76
	v_fmac_f32_e32 v14, 0x3f5db3d7, v10
	s_delay_alu instid0(VALU_DEP_4) | instskip(SKIP_3) | instid1(VALU_DEP_4)
	v_fmac_f32_e32 v16, 0x3f5db3d7, v19
	v_add_f32_e32 v10, v26, v15
	v_dual_sub_f32 v15, v26, v15 :: v_dual_sub_f32 v26, v17, v6
	v_mul_f32_e32 v118, -0.5, v67
	v_dual_sub_f32 v120, v18, v16 :: v_dual_add_f32 v119, v5, v14
	v_sub_f32_e32 v14, v5, v14
	v_add_f32_e32 v108, v105, v11
	s_delay_alu instid0(VALU_DEP_4) | instskip(SKIP_3) | instid1(VALU_DEP_4)
	v_fmac_f32_e32 v118, 0x3f5db3d7, v64
	v_add_f32_e32 v64, v116, v117
	v_dual_sub_f32 v116, v116, v117 :: v_dual_add_f32 v117, v17, v6
	v_mul_u32_u24_e32 v6, 0xf0, v52
	v_add_f32_e32 v67, v115, v118
	v_dual_sub_f32 v115, v115, v118 :: v_dual_add_f32 v118, v18, v16
	v_lshlrev_b32_e32 v16, 2, v51
	v_and_b32_e32 v17, 0xffff, v50
	v_add_f32_e32 v19, v1, v82
	v_sub_f32_e32 v1, v1, v82
	v_sub_f32_e32 v11, v105, v11
	v_add3_u32 v50, 0, v6, v16
	v_mul_u32_u24_e32 v5, 0xf0, v17
	v_lshlrev_b32_e32 v6, 2, v46
	v_and_b32_e32 v16, 0xffff, v47
	ds_store_2addr_b32 v50, v7, v106 offset1:10
	ds_store_2addr_b32 v50, v98, v2 offset0:20 offset1:30
	ds_store_2addr_b32 v50, v101, v107 offset0:40 offset1:50
	v_add3_u32 v51, 0, v5, v6
	v_mul_u32_u24_e32 v5, 0xf0, v16
	v_lshlrev_b32_e32 v6, 2, v55
	v_and_b32_e32 v2, 0xffff, v53
	v_lshlrev_b32_e32 v7, 2, v30
	ds_store_2addr_b32 v51, v8, v99 offset1:10
	ds_store_2addr_b32 v51, v97, v58 offset0:20 offset1:30
	ds_store_2addr_b32 v51, v100, v102 offset0:40 offset1:50
	v_add3_u32 v52, 0, v5, v6
	v_mul_u32_u24_e32 v2, 0xf0, v2
	v_lshlrev_b32_e32 v5, 2, v54
	v_mul_u32_u24_e32 v6, 0xf0, v34
	ds_store_2addr_b32 v52, v59, v103 offset1:10
	ds_store_2addr_b32 v52, v104, v60 offset0:20 offset1:30
	ds_store_2addr_b32 v52, v92, v94 offset0:40 offset1:50
	v_add3_u32 v30, 0, v2, v5
	v_mul_u32_u24_e32 v2, 0xf0, v33
	v_lshlrev_b32_e32 v5, 2, v28
	v_add3_u32 v28, 0, v6, v7
	ds_store_2addr_b32 v30, v66, v95 offset1:10
	ds_store_2addr_b32 v30, v109, v112 offset0:20 offset1:30
	v_add3_u32 v33, 0, v2, v5
	ds_store_2addr_b32 v30, v111, v3 offset0:40 offset1:50
	ds_store_2addr_b32 v28, v0, v9 offset1:10
	ds_store_2addr_b32 v28, v72, v76 offset0:20 offset1:30
	ds_store_2addr_b32 v28, v79, v81 offset0:40 offset1:50
	ds_store_2addr_b32 v33, v108, v10 offset1:10
	ds_store_2addr_b32 v33, v19, v11 offset0:20 offset1:30
	ds_store_2addr_b32 v33, v15, v1 offset0:40 offset1:50
	global_wb scope:SCOPE_SE
	s_wait_dscnt 0x0
	s_barrier_signal -1
	s_barrier_wait -1
	global_inv scope:SCOPE_SE
	ds_load_2addr_b32 v[2:3], v24 offset1:180
	ds_load_2addr_b32 v[18:19], v12 offset0:104 offset1:164
	ds_load_2addr_b32 v[46:47], v45 offset0:80 offset1:140
	;; [unrolled: 1-line block ×5, first 2 shown]
	ds_load_b32 v17, v22
	ds_load_b32 v16, v23
	ds_load_2addr_b32 v[99:100], v42 offset0:96 offset1:156
	ds_load_2addr_b32 v[101:102], v74 offset0:72 offset1:132
	;; [unrolled: 1-line block ×11, first 2 shown]
	global_wb scope:SCOPE_SE
	s_wait_dscnt 0x0
	s_barrier_signal -1
	s_barrier_wait -1
	global_inv scope:SCOPE_SE
	ds_store_2addr_b32 v50, v27, v61 offset1:10
	ds_store_2addr_b32 v50, v63, v29 offset0:20 offset1:30
	ds_store_2addr_b32 v50, v65, v68 offset0:40 offset1:50
	ds_store_2addr_b32 v51, v31, v69 offset1:10
	ds_store_2addr_b32 v51, v70, v35 offset0:20 offset1:30
	ds_store_2addr_b32 v51, v57, v73 offset0:40 offset1:50
	;; [unrolled: 3-line block ×6, first 2 shown]
	v_mul_lo_u16 v14, 0x89, v41
	v_mul_u32_u24_e32 v4, 5, v110
	global_wb scope:SCOPE_SE
	s_wait_dscnt 0x0
	s_barrier_signal -1
	s_barrier_wait -1
	v_lshrrev_b16 v14, 13, v14
	v_lshlrev_b32_e32 v26, 3, v4
	global_inv scope:SCOPE_SE
	v_mul_lo_u16 v4, 0x89, v43
	v_mul_u32_u24_e32 v15, 0x8889, v32
	v_mul_lo_u16 v14, v14, 60
	s_clause 0x1
	global_load_b128 v[50:53], v26, s[8:9] offset:416
	global_load_b64 v[90:91], v26, s[8:9] offset:432
	v_lshrrev_b16 v4, 13, v4
	global_load_b128 v[27:30], v26, s[8:9] offset:400
	v_sub_nc_u16 v13, v13, v14
	v_lshrrev_b32_e32 v15, 21, v15
	ds_load_2addr_b32 v[71:72], v12 offset0:104 offset1:164
	v_mul_lo_u16 v4, v4, 60
	ds_load_2addr_b32 v[76:77], v45 offset0:80 offset1:140
	v_and_b32_e32 v13, 0xff, v13
	v_mul_lo_u16 v15, v15, 60
	v_sub_nc_u16 v4, v89, v4
	s_delay_alu instid0(VALU_DEP_3) | instskip(NEXT) | instid1(VALU_DEP_3)
	v_mul_u32_u24_e32 v14, 5, v13
	v_sub_nc_u16 v41, v25, v15
	s_delay_alu instid0(VALU_DEP_2) | instskip(SKIP_3) | instid1(VALU_DEP_1)
	v_lshlrev_b32_e32 v39, 3, v14
	v_mul_u32_u24_e32 v14, 0x8889, v37
	global_load_b128 v[58:61], v39, s[8:9] offset:400
	v_lshrrev_b32_e32 v14, 21, v14
	v_mul_lo_u16 v14, v14, 60
	s_delay_alu instid0(VALU_DEP_1) | instskip(SKIP_4) | instid1(VALU_DEP_3)
	v_sub_nc_u16 v14, v36, v14
	global_load_b128 v[35:38], v39, s[8:9] offset:416
	v_and_b32_e32 v11, 0xff, v4
	v_and_b32_e32 v15, 0xffff, v14
	;; [unrolled: 1-line block ×3, first 2 shown]
	v_mul_u32_u24_e32 v4, 5, v11
	s_delay_alu instid0(VALU_DEP_3) | instskip(NEXT) | instid1(VALU_DEP_3)
	v_mul_u32_u24_e32 v41, 5, v15
	v_mul_u32_u24_e32 v43, 5, v14
	s_delay_alu instid0(VALU_DEP_3) | instskip(SKIP_1) | instid1(VALU_DEP_4)
	v_lshlrev_b32_e32 v4, 3, v4
	v_lshl_add_u32 v14, v14, 2, 0
	v_lshlrev_b32_e32 v41, 3, v41
	s_delay_alu instid0(VALU_DEP_4)
	v_lshlrev_b32_e32 v43, 3, v43
	s_clause 0x2
	global_load_b128 v[54:57], v4, s[8:9] offset:400
	global_load_b128 v[31:34], v4, s[8:9] offset:416
	global_load_b64 v[92:93], v4, s[8:9] offset:432
	ds_load_2addr_b32 v[78:79], v44 offset0:56 offset1:116
	ds_load_2addr_b32 v[115:116], v40 offset0:160 offset1:220
	;; [unrolled: 1-line block ×4, first 2 shown]
	s_clause 0x3
	global_load_b64 v[121:122], v41, s[8:9] offset:432
	global_load_b128 v[63:66], v41, s[8:9] offset:416
	global_load_b64 v[123:124], v39, s[8:9] offset:432
	global_load_b128 v[67:70], v41, s[8:9] offset:400
	s_wait_loadcnt_dscnt 0xb03
	v_mul_f32_e32 v83, v78, v51
	v_mul_f32_e32 v87, v79, v51
	s_wait_dscnt 0x2
	v_mul_f32_e32 v125, v115, v53
	s_wait_loadcnt 0x9
	v_mul_f32_e32 v73, v71, v28
	v_mul_f32_e32 v4, v18, v28
	;; [unrolled: 1-line block ×3, first 2 shown]
	v_dual_mul_f32 v28, v19, v28 :: v_dual_mul_f32 v41, v76, v30
	s_delay_alu instid0(VALU_DEP_4) | instskip(NEXT) | instid1(VALU_DEP_4)
	v_fmac_f32_e32 v73, v18, v27
	v_fma_f32 v71, v71, v27, -v4
	v_mul_f32_e32 v4, v46, v30
	v_mul_f32_e32 v18, v47, v30
	v_dual_fmac_f32 v39, v19, v27 :: v_dual_mul_f32 v80, v77, v30
	v_mul_f32_e32 v19, v94, v53
	s_delay_alu instid0(VALU_DEP_4) | instskip(NEXT) | instid1(VALU_DEP_4)
	v_fma_f32 v96, v76, v29, -v4
	v_fma_f32 v109, v77, v29, -v18
	v_mul_f32_e32 v4, v81, v51
	v_dual_mul_f32 v18, v82, v51 :: v_dual_fmac_f32 v83, v81, v50
	v_dual_fmac_f32 v87, v82, v50 :: v_dual_mul_f32 v126, v116, v53
	s_delay_alu instid0(VALU_DEP_3) | instskip(NEXT) | instid1(VALU_DEP_3)
	v_fma_f32 v81, v78, v50, -v4
	v_fma_f32 v82, v79, v50, -v18
	global_load_b128 v[76:79], v43, s[8:9] offset:400
	v_dual_mul_f32 v4, v95, v53 :: v_dual_fmac_f32 v125, v94, v52
	v_fma_f32 v94, v115, v52, -v19
	v_fmac_f32_e32 v126, v95, v52
	v_fma_f32 v72, v72, v27, -v28
	s_delay_alu instid0(VALU_DEP_4)
	v_fma_f32 v95, v116, v52, -v4
	global_load_b128 v[50:53], v43, s[8:9] offset:416
	ds_load_2addr_b32 v[27:28], v44 offset0:176 offset1:236
	s_wait_loadcnt_dscnt 0x802
	v_dual_fmac_f32 v80, v47, v29 :: v_dual_mul_f32 v115, v117, v55
	v_mul_f32_e32 v4, v99, v55
	s_wait_dscnt 0x1
	v_mul_f32_e32 v55, v119, v57
	s_delay_alu instid0(VALU_DEP_3) | instskip(NEXT) | instid1(VALU_DEP_3)
	v_dual_mul_f32 v18, v101, v57 :: v_dual_fmac_f32 v115, v99, v54
	v_fma_f32 v54, v117, v54, -v4
	s_delay_alu instid0(VALU_DEP_3) | instskip(NEXT) | instid1(VALU_DEP_3)
	v_fmac_f32_e32 v55, v101, v56
	v_fma_f32 v56, v119, v56, -v18
	global_load_b64 v[18:19], v43, s[8:9] offset:432
	v_mul_f32_e32 v4, v100, v59
	v_mul_f32_e32 v43, v118, v59
	s_wait_dscnt 0x0
	v_mul_f32_e32 v101, v28, v36
	s_delay_alu instid0(VALU_DEP_3) | instskip(NEXT) | instid1(VALU_DEP_3)
	v_fma_f32 v57, v118, v58, -v4
	v_dual_mul_f32 v4, v102, v61 :: v_dual_fmac_f32 v43, v100, v58
	v_mul_f32_e32 v58, v120, v61
	s_delay_alu instid0(VALU_DEP_4) | instskip(NEXT) | instid1(VALU_DEP_3)
	v_fmac_f32_e32 v101, v104, v35
	v_fma_f32 v59, v120, v60, -v4
	s_wait_loadcnt 0x8
	v_mul_f32_e32 v4, v103, v32
	v_fmac_f32_e32 v58, v102, v60
	v_mul_f32_e32 v60, v27, v32
	v_mul_f32_e32 v32, v105, v34
	s_delay_alu instid0(VALU_DEP_4) | instskip(SKIP_1) | instid1(VALU_DEP_4)
	v_fma_f32 v99, v27, v31, -v4
	v_mul_f32_e32 v4, v104, v36
	v_fmac_f32_e32 v60, v103, v31
	s_delay_alu instid0(VALU_DEP_2)
	v_fma_f32 v103, v28, v35, -v4
	ds_load_2addr_b32 v[35:36], v40 offset0:40 offset1:100
	v_fmac_f32_e32 v41, v46, v29
	ds_load_2addr_b32 v[29:30], v75 offset0:24 offset1:84
	ds_load_2addr_b32 v[46:47], v62 offset0:8 offset1:68
	v_dual_mul_f32 v27, v106, v38 :: v_dual_mul_f32 v4, v97, v91
	v_lshl_add_u32 v15, v15, 2, 0
	s_wait_dscnt 0x1
	v_fma_f32 v100, v29, v33, -v32
	ds_load_2addr_b32 v[31:32], v62 offset0:128 offset1:188
	v_mul_f32_e32 v61, v29, v34
	v_mul_f32_e32 v102, v30, v38
	ds_load_2addr_b32 v[28:29], v85 offset0:88 offset1:148
	s_wait_dscnt 0x2
	v_dual_mul_f32 v104, v46, v91 :: v_dual_fmac_f32 v61, v105, v33
	ds_load_2addr_b32 v[33:34], v74 offset0:192 offset1:252
	v_fmac_f32_e32 v102, v106, v37
	v_fma_f32 v105, v30, v37, -v27
	v_mul_f32_e32 v106, v47, v91
	v_dual_mul_f32 v27, v98, v91 :: v_dual_fmac_f32 v104, v97, v90
	ds_load_2addr_b32 v[37:38], v75 offset0:144 offset1:204
	v_fma_f32 v97, v46, v90, -v4
	s_wait_loadcnt 0x7
	v_mul_f32_e32 v4, v107, v93
	v_fmac_f32_e32 v106, v98, v90
	v_fma_f32 v90, v47, v90, -v27
	ds_load_2addr_b32 v[46:47], v86 offset0:120 offset1:180
	s_wait_loadcnt 0x3
	v_mul_f32_e32 v30, v111, v68
	s_wait_dscnt 0x4
	v_mul_f32_e32 v91, v31, v93
	v_mul_f32_e32 v93, v32, v124
	s_wait_dscnt 0x3
	v_mul_f32_e32 v27, v28, v68
	s_delay_alu instid0(VALU_DEP_3)
	v_fmac_f32_e32 v91, v107, v92
	v_fma_f32 v92, v31, v92, -v4
	v_mul_f32_e32 v4, v108, v124
	s_wait_dscnt 0x2
	v_dual_mul_f32 v68, v33, v70 :: v_dual_fmac_f32 v27, v111, v67
	v_fma_f32 v67, v28, v67, -v30
	v_mul_f32_e32 v28, v9, v64
	v_fma_f32 v32, v32, v123, -v4
	v_mul_f32_e32 v4, v113, v70
	v_mul_f32_e32 v70, v35, v64
	s_wait_dscnt 0x1
	v_mul_f32_e32 v64, v37, v66
	v_fma_f32 v35, v35, v63, -v28
	ds_load_2addr_b32 v[30:31], v24 offset1:180
	v_fma_f32 v33, v33, v69, -v4
	v_mul_f32_e32 v4, v7, v66
	v_fmac_f32_e32 v70, v9, v63
	v_dual_mul_f32 v9, v5, v122 :: v_dual_fmac_f32 v64, v7, v65
	s_wait_dscnt 0x1
	v_mul_f32_e32 v63, v46, v122
	v_fma_f32 v37, v37, v65, -v4
	v_fmac_f32_e32 v68, v113, v69
	v_fma_f32 v46, v46, v121, -v9
	ds_load_b32 v65, v22
	ds_load_b32 v66, v23
	s_wait_loadcnt 0x2
	v_mul_f32_e32 v4, v112, v77
	v_mul_f32_e32 v7, v29, v77
	;; [unrolled: 1-line block ×3, first 2 shown]
	s_delay_alu instid0(VALU_DEP_3) | instskip(SKIP_4) | instid1(VALU_DEP_3)
	v_fma_f32 v9, v29, v76, -v4
	v_mul_f32_e32 v29, v114, v79
	s_wait_loadcnt 0x1
	v_mul_f32_e32 v28, v36, v51
	v_mul_f32_e32 v51, v10, v51
	v_fma_f32 v29, v34, v78, -v29
	v_mul_f32_e32 v34, v38, v53
	s_delay_alu instid0(VALU_DEP_4) | instskip(SKIP_2) | instid1(VALU_DEP_4)
	v_fmac_f32_e32 v28, v10, v50
	v_mul_f32_e32 v10, v8, v53
	v_fma_f32 v36, v36, v50, -v51
	v_dual_add_f32 v53, v73, v83 :: v_dual_fmac_f32 v34, v8, v52
	s_delay_alu instid0(VALU_DEP_3) | instskip(SKIP_2) | instid1(VALU_DEP_2)
	v_fma_f32 v38, v38, v52, -v10
	v_add_f32_e32 v10, v41, v125
	v_add_f32_e32 v52, v71, v81
	v_fma_f32 v10, -0.5, v10, v2
	s_delay_alu instid0(VALU_DEP_2) | instskip(SKIP_3) | instid1(VALU_DEP_2)
	v_add_f32_e32 v52, v52, v97
	s_wait_loadcnt 0x0
	v_mul_f32_e32 v50, v47, v19
	v_mul_f32_e32 v8, v6, v19
	v_fmac_f32_e32 v50, v6, v18
	v_add_f32_e32 v6, v2, v41
	s_delay_alu instid0(VALU_DEP_3) | instskip(SKIP_2) | instid1(VALU_DEP_4)
	v_fma_f32 v47, v47, v18, -v8
	v_add_f32_e32 v8, v96, v94
	v_sub_f32_e32 v2, v96, v94
	v_dual_add_f32 v18, v6, v125 :: v_dual_fmac_f32 v93, v108, v123
	s_wait_dscnt 0x2
	v_add_f32_e32 v6, v30, v96
	v_fma_f32 v19, -0.5, v8, v30
	v_sub_f32_e32 v8, v41, v125
	v_fmamk_f32 v30, v2, 0xbf5db3d7, v10
	v_fmac_f32_e32 v10, 0x3f5db3d7, v2
	s_delay_alu instid0(VALU_DEP_3) | instskip(SKIP_3) | instid1(VALU_DEP_4)
	v_dual_add_f32 v2, v81, v97 :: v_dual_fmamk_f32 v51, v8, 0x3f5db3d7, v19
	v_fmac_f32_e32 v19, 0xbf5db3d7, v8
	v_dual_add_f32 v41, v6, v94 :: v_dual_add_f32 v6, v83, v104
	v_fmac_f32_e32 v63, v5, v121
	v_dual_fmac_f32 v71, -0.5, v2 :: v_dual_sub_f32 v2, v83, v104
	v_add_f32_e32 v83, v72, v82
	s_delay_alu instid0(VALU_DEP_4)
	v_dual_fmac_f32 v73, -0.5, v6 :: v_dual_sub_f32 v6, v81, v97
	ds_load_2addr_b32 v[4:5], v84 offset0:112 offset1:172
	v_fmamk_f32 v8, v2, 0x3f5db3d7, v71
	v_fmac_f32_e32 v7, v112, v76
	v_fmac_f32_e32 v71, 0xbf5db3d7, v2
	v_fmamk_f32 v2, v6, 0xbf5db3d7, v73
	v_fmac_f32_e32 v73, 0x3f5db3d7, v6
	v_dual_mul_f32 v76, 0xbf5db3d7, v8 :: v_dual_fmac_f32 v69, v114, v78
	s_delay_alu instid0(VALU_DEP_4) | instskip(NEXT) | instid1(VALU_DEP_2)
	v_dual_mul_f32 v78, 0.5, v8 :: v_dual_mul_f32 v77, 0xbf5db3d7, v71
	v_dual_mul_f32 v71, -0.5, v71 :: v_dual_fmac_f32 v76, 0.5, v2
	v_add_f32_e32 v83, v83, v90
	s_delay_alu instid0(VALU_DEP_3) | instskip(NEXT) | instid1(VALU_DEP_3)
	v_dual_fmac_f32 v78, 0x3f5db3d7, v2 :: v_dual_fmac_f32 v77, -0.5, v73
	v_fmac_f32_e32 v71, 0x3f5db3d7, v73
	v_add_f32_e32 v53, v53, v104
	s_delay_alu instid0(VALU_DEP_3) | instskip(NEXT) | instid1(VALU_DEP_3)
	v_dual_add_f32 v73, v30, v76 :: v_dual_add_f32 v6, v51, v78
	v_dual_add_f32 v81, v10, v77 :: v_dual_add_f32 v8, v19, v71
	v_add_f32_e32 v2, v41, v52
	v_sub_f32_e32 v30, v30, v76
	v_sub_f32_e32 v76, v10, v77
	v_dual_sub_f32 v10, v41, v52 :: v_dual_add_f32 v41, v80, v126
	v_dual_add_f32 v52, v109, v95 :: v_dual_add_f32 v79, v18, v53
	v_dual_sub_f32 v53, v18, v53 :: v_dual_sub_f32 v18, v51, v78
	v_add_f32_e32 v51, v17, v80
	v_sub_f32_e32 v19, v19, v71
	v_fmac_f32_e32 v17, -0.5, v41
	v_sub_f32_e32 v41, v109, v95
	s_wait_dscnt 0x2
	v_add_f32_e32 v71, v65, v109
	v_dual_fmac_f32 v65, -0.5, v52 :: v_dual_sub_f32 v52, v80, v126
	s_delay_alu instid0(VALU_DEP_3)
	v_dual_add_f32 v80, v87, v106 :: v_dual_fmamk_f32 v77, v41, 0xbf5db3d7, v17
	global_wb scope:SCOPE_SE
	s_wait_dscnt 0x0
	s_barrier_signal -1
	v_fmamk_f32 v78, v52, 0x3f5db3d7, v65
	v_fmac_f32_e32 v65, 0xbf5db3d7, v52
	v_fmac_f32_e32 v17, 0x3f5db3d7, v41
	v_add_f32_e32 v41, v82, v90
	s_barrier_wait -1
	global_inv scope:SCOPE_SE
	v_dual_fmac_f32 v72, -0.5, v41 :: v_dual_sub_f32 v41, v87, v106
	v_add_f32_e32 v87, v39, v87
	v_dual_fmac_f32 v39, -0.5, v80 :: v_dual_sub_f32 v80, v82, v90
	ds_store_2addr_b32 v24, v79, v73 offset1:60
	v_fmamk_f32 v52, v41, 0x3f5db3d7, v72
	v_dual_fmac_f32 v72, 0xbf5db3d7, v41 :: v_dual_add_f32 v41, v87, v106
	v_fmamk_f32 v82, v80, 0xbf5db3d7, v39
	v_fmac_f32_e32 v39, 0x3f5db3d7, v80
	s_delay_alu instid0(VALU_DEP_4) | instskip(NEXT) | instid1(VALU_DEP_4)
	v_mul_f32_e32 v80, 0xbf5db3d7, v52
	v_mul_f32_e32 v87, 0xbf5db3d7, v72
	v_mul_f32_e32 v52, 0.5, v52
	v_dual_mul_f32 v72, -0.5, v72 :: v_dual_add_f32 v51, v51, v126
	s_delay_alu instid0(VALU_DEP_3) | instskip(NEXT) | instid1(VALU_DEP_3)
	v_dual_fmac_f32 v80, 0.5, v82 :: v_dual_fmac_f32 v87, -0.5, v39
	v_fmac_f32_e32 v52, 0x3f5db3d7, v82
	s_delay_alu instid0(VALU_DEP_3) | instskip(SKIP_1) | instid1(VALU_DEP_3)
	v_fmac_f32_e32 v72, 0x3f5db3d7, v39
	v_add_f32_e32 v71, v71, v95
	v_add_f32_e32 v95, v78, v52
	s_delay_alu instid0(VALU_DEP_3)
	v_add_f32_e32 v96, v65, v72
	v_add_f32_e32 v82, v17, v87
	v_sub_f32_e32 v17, v17, v87
	v_sub_f32_e32 v98, v65, v72
	v_add_f32_e32 v94, v71, v83
	v_sub_f32_e32 v87, v71, v83
	v_add_f32_e32 v71, v55, v61
	v_add_f32_e32 v65, v56, v100
	v_dual_sub_f32 v97, v78, v52 :: v_dual_add_f32 v52, v16, v55
	v_add_f32_e32 v72, v60, v91
	s_delay_alu instid0(VALU_DEP_4)
	v_dual_fmac_f32 v16, -0.5, v71 :: v_dual_sub_f32 v71, v56, v100
	v_add_f32_e32 v56, v66, v56
	v_dual_fmac_f32 v66, -0.5, v65 :: v_dual_add_f32 v65, v99, v92
	v_add_f32_e32 v90, v51, v41
	v_sub_f32_e32 v41, v51, v41
	v_dual_sub_f32 v51, v77, v80 :: v_dual_add_f32 v52, v52, v61
	v_sub_f32_e32 v55, v55, v61
	v_add_f32_e32 v39, v77, v80
	v_dual_add_f32 v77, v54, v99 :: v_dual_fmac_f32 v54, -0.5, v65
	v_dual_sub_f32 v65, v60, v91 :: v_dual_add_f32 v60, v115, v60
	v_add_f32_e32 v56, v56, v100
	s_delay_alu instid0(VALU_DEP_2) | instskip(SKIP_1) | instid1(VALU_DEP_2)
	v_dual_add_f32 v60, v60, v91 :: v_dual_fmamk_f32 v61, v71, 0xbf5db3d7, v16
	v_fmac_f32_e32 v16, 0x3f5db3d7, v71
	v_add_f32_e32 v80, v52, v60
	v_dual_sub_f32 v52, v52, v60 :: v_dual_fmamk_f32 v71, v55, 0x3f5db3d7, v66
	v_fmac_f32_e32 v115, -0.5, v72
	v_sub_f32_e32 v72, v99, v92
	v_fmac_f32_e32 v66, 0xbf5db3d7, v55
	v_fmamk_f32 v55, v65, 0x3f5db3d7, v54
	v_fmac_f32_e32 v54, 0xbf5db3d7, v65
	ds_store_2addr_b32 v24, v81, v53 offset0:120 offset1:180
	ds_store_2addr_b32 v84, v30, v76 offset0:112 offset1:172
	;; [unrolled: 1-line block ×3, first 2 shown]
	v_fmamk_f32 v65, v72, 0xbf5db3d7, v115
	v_fmac_f32_e32 v115, 0x3f5db3d7, v72
	v_mul_f32_e32 v78, 0xbf5db3d7, v54
	v_mul_f32_e32 v54, -0.5, v54
	s_delay_alu instid0(VALU_DEP_1) | instskip(NEXT) | instid1(VALU_DEP_1)
	v_fmac_f32_e32 v54, 0x3f5db3d7, v115
	v_sub_f32_e32 v106, v66, v54
	v_dual_add_f32 v99, v66, v54 :: v_dual_add_f32 v54, v59, v105
	v_dual_add_f32 v77, v77, v92 :: v_dual_fmac_f32 v78, -0.5, v115
	v_add_f32_e32 v66, v101, v93
	s_delay_alu instid0(VALU_DEP_2) | instskip(SKIP_3) | instid1(VALU_DEP_3)
	v_sub_f32_e32 v100, v56, v77
	v_mul_f32_e32 v72, 0xbf5db3d7, v55
	v_mul_f32_e32 v55, 0.5, v55
	v_dual_add_f32 v91, v56, v77 :: v_dual_add_f32 v56, v58, v102
	v_dual_add_f32 v83, v16, v78 :: v_dual_fmac_f32 v72, 0.5, v65
	s_delay_alu instid0(VALU_DEP_3)
	v_dual_fmac_f32 v55, 0x3f5db3d7, v65 :: v_dual_sub_f32 v16, v16, v78
	ds_store_2addr_b32 v42, v82, v41 offset0:96 offset1:156
	ds_store_2addr_b32 v85, v51, v17 offset0:88 offset1:148
	v_sub_f32_e32 v60, v61, v72
	v_add_f32_e32 v92, v71, v55
	v_sub_f32_e32 v104, v71, v55
	v_add_f32_e32 v55, v3, v58
	v_dual_fmac_f32 v3, -0.5, v56 :: v_dual_sub_f32 v56, v59, v105
	v_add_f32_e32 v65, v61, v72
	v_dual_add_f32 v71, v57, v103 :: v_dual_add_f32 v72, v43, v101
	v_dual_fmac_f32 v43, -0.5, v66 :: v_dual_sub_f32 v66, v103, v32
	v_add_f32_e32 v59, v31, v59
	v_fmac_f32_e32 v31, -0.5, v54
	v_sub_f32_e32 v54, v58, v102
	v_fmamk_f32 v58, v56, 0xbf5db3d7, v3
	v_fmac_f32_e32 v3, 0x3f5db3d7, v56
	v_add_f32_e32 v56, v103, v32
	s_delay_alu instid0(VALU_DEP_4) | instskip(SKIP_1) | instid1(VALU_DEP_3)
	v_dual_add_f32 v32, v71, v32 :: v_dual_fmamk_f32 v61, v54, 0x3f5db3d7, v31
	v_fmac_f32_e32 v31, 0xbf5db3d7, v54
	v_dual_fmac_f32 v57, -0.5, v56 :: v_dual_sub_f32 v56, v101, v93
	s_delay_alu instid0(VALU_DEP_1) | instskip(SKIP_3) | instid1(VALU_DEP_4)
	v_dual_fmamk_f32 v54, v56, 0x3f5db3d7, v57 :: v_dual_add_f32 v55, v55, v102
	v_dual_fmac_f32 v57, 0xbf5db3d7, v56 :: v_dual_add_f32 v56, v72, v93
	v_dual_fmamk_f32 v72, v66, 0xbf5db3d7, v43 :: v_dual_add_f32 v59, v59, v105
	v_fmac_f32_e32 v43, 0x3f5db3d7, v66
	v_mul_f32_e32 v66, 0xbf5db3d7, v54
	s_delay_alu instid0(VALU_DEP_4) | instskip(SKIP_2) | instid1(VALU_DEP_4)
	v_dual_mul_f32 v54, 0.5, v54 :: v_dual_add_f32 v71, v55, v56
	v_sub_f32_e32 v55, v55, v56
	v_add_f32_e32 v93, v59, v32
	v_fmac_f32_e32 v66, 0.5, v72
	s_delay_alu instid0(VALU_DEP_4) | instskip(SKIP_1) | instid1(VALU_DEP_3)
	v_fmac_f32_e32 v54, 0x3f5db3d7, v72
	v_sub_f32_e32 v32, v59, v32
	v_dual_sub_f32 v56, v58, v66 :: v_dual_mul_f32 v77, 0xbf5db3d7, v57
	s_delay_alu instid0(VALU_DEP_3) | instskip(SKIP_2) | instid1(VALU_DEP_4)
	v_add_f32_e32 v101, v61, v54
	v_dual_sub_f32 v103, v61, v54 :: v_dual_add_f32 v54, v0, v68
	v_mul_f32_e32 v57, -0.5, v57
	v_fmac_f32_e32 v77, -0.5, v43
	v_add_f32_e32 v61, v70, v63
	s_delay_alu instid0(VALU_DEP_3) | instskip(SKIP_1) | instid1(VALU_DEP_3)
	v_dual_add_f32 v54, v54, v64 :: v_dual_fmac_f32 v57, 0x3f5db3d7, v43
	v_dual_add_f32 v43, v58, v66 :: v_dual_add_f32 v58, v68, v64
	v_dual_add_f32 v66, v27, v70 :: v_dual_fmac_f32 v27, -0.5, v61
	s_delay_alu instid0(VALU_DEP_2) | instskip(SKIP_1) | instid1(VALU_DEP_1)
	v_fma_f32 v0, -0.5, v58, v0
	v_sub_f32_e32 v58, v33, v37
	v_dual_add_f32 v72, v3, v77 :: v_dual_fmamk_f32 v59, v58, 0xbf5db3d7, v0
	v_fmac_f32_e32 v0, 0x3f5db3d7, v58
	v_add_f32_e32 v58, v35, v46
	v_add_f32_e32 v102, v31, v57
	v_sub_f32_e32 v31, v31, v57
	v_add_f32_e32 v57, v33, v37
	v_add_f32_e32 v33, v4, v33
	s_delay_alu instid0(VALU_DEP_2) | instskip(SKIP_2) | instid1(VALU_DEP_4)
	v_fma_f32 v4, -0.5, v57, v4
	v_dual_sub_f32 v57, v68, v64 :: v_dual_add_f32 v64, v67, v35
	v_dual_fmac_f32 v67, -0.5, v58 :: v_dual_sub_f32 v58, v70, v63
	v_add_f32_e32 v33, v33, v37
	s_delay_alu instid0(VALU_DEP_3) | instskip(SKIP_1) | instid1(VALU_DEP_4)
	v_fmamk_f32 v37, v57, 0x3f5db3d7, v4
	v_dual_sub_f32 v35, v35, v46 :: v_dual_fmac_f32 v4, 0xbf5db3d7, v57
	v_fmamk_f32 v57, v58, 0x3f5db3d7, v67
	v_dual_fmac_f32 v67, 0xbf5db3d7, v58 :: v_dual_add_f32 v58, v66, v63
	v_dual_sub_f32 v3, v3, v77 :: v_dual_add_f32 v46, v64, v46
	s_delay_alu instid0(VALU_DEP_2)
	v_dual_mul_f32 v63, 0xbf5db3d7, v67 :: v_dual_add_f32 v66, v54, v58
	v_sub_f32_e32 v54, v54, v58
	v_dual_add_f32 v58, v29, v38 :: v_dual_fmamk_f32 v61, v35, 0xbf5db3d7, v27
	v_fmac_f32_e32 v27, 0x3f5db3d7, v35
	v_mul_f32_e32 v35, 0xbf5db3d7, v57
	v_dual_mul_f32 v57, 0.5, v57 :: v_dual_mul_f32 v64, -0.5, v67
	s_delay_alu instid0(VALU_DEP_3) | instskip(NEXT) | instid1(VALU_DEP_3)
	v_fmac_f32_e32 v63, -0.5, v27
	v_fmac_f32_e32 v35, 0.5, v61
	s_delay_alu instid0(VALU_DEP_3) | instskip(NEXT) | instid1(VALU_DEP_3)
	v_dual_fmac_f32 v57, 0x3f5db3d7, v61 :: v_dual_fmac_f32 v64, 0x3f5db3d7, v27
	v_add_f32_e32 v61, v0, v63
	v_dual_sub_f32 v0, v0, v63 :: v_dual_add_f32 v105, v33, v46
	v_sub_f32_e32 v33, v33, v46
	v_add_f32_e32 v46, v69, v34
	v_add_f32_e32 v108, v4, v64
	v_dual_sub_f32 v4, v4, v64 :: v_dual_add_f32 v107, v37, v57
	v_sub_f32_e32 v37, v37, v57
	v_add_f32_e32 v57, v1, v69
	v_fmac_f32_e32 v1, -0.5, v46
	v_sub_f32_e32 v46, v29, v38
	v_add_f32_e32 v29, v5, v29
	v_add_f32_e32 v63, v9, v36
	;; [unrolled: 1-line block ×3, first 2 shown]
	v_fmac_f32_e32 v5, -0.5, v58
	v_fmamk_f32 v58, v46, 0xbf5db3d7, v1
	v_dual_fmac_f32 v1, 0x3f5db3d7, v46 :: v_dual_add_f32 v46, v36, v47
	v_sub_f32_e32 v34, v69, v34
	v_dual_add_f32 v29, v29, v38 :: v_dual_sub_f32 v36, v36, v47
	v_add_f32_e32 v47, v63, v47
	s_delay_alu instid0(VALU_DEP_4)
	v_fmac_f32_e32 v9, -0.5, v46
	v_dual_sub_f32 v46, v28, v50 :: v_dual_add_f32 v27, v59, v35
	v_sub_f32_e32 v35, v59, v35
	v_dual_add_f32 v59, v28, v50 :: v_dual_add_f32 v28, v7, v28
	v_add_f32_e32 v109, v29, v47
	v_sub_f32_e32 v29, v29, v47
	s_delay_alu instid0(VALU_DEP_3) | instskip(NEXT) | instid1(VALU_DEP_1)
	v_dual_fmac_f32 v7, -0.5, v59 :: v_dual_add_f32 v28, v28, v50
	v_add_f32_e32 v59, v57, v28
	v_sub_f32_e32 v28, v57, v28
	v_fmamk_f32 v38, v34, 0x3f5db3d7, v5
	v_fmac_f32_e32 v5, 0xbf5db3d7, v34
	v_fmamk_f32 v34, v46, 0x3f5db3d7, v9
	v_fmac_f32_e32 v9, 0xbf5db3d7, v46
	;; [unrolled: 2-line block ×3, first 2 shown]
	s_delay_alu instid0(VALU_DEP_4) | instskip(NEXT) | instid1(VALU_DEP_4)
	v_mul_f32_e32 v36, 0xbf5db3d7, v34
	v_mul_f32_e32 v50, 0xbf5db3d7, v9
	v_dual_mul_f32 v9, -0.5, v9 :: v_dual_mul_f32 v34, 0.5, v34
	s_delay_alu instid0(VALU_DEP_3) | instskip(NEXT) | instid1(VALU_DEP_3)
	v_fmac_f32_e32 v36, 0.5, v46
	v_fmac_f32_e32 v50, -0.5, v7
	s_delay_alu instid0(VALU_DEP_3) | instskip(NEXT) | instid1(VALU_DEP_2)
	v_dual_fmac_f32 v9, 0x3f5db3d7, v7 :: v_dual_fmac_f32 v34, 0x3f5db3d7, v46
	v_dual_add_f32 v7, v58, v36 :: v_dual_add_f32 v46, v1, v50
	s_delay_alu instid0(VALU_DEP_2)
	v_add_f32_e32 v114, v5, v9
	v_sub_f32_e32 v5, v5, v9
	v_lshl_add_u32 v9, v11, 2, 0
	v_lshl_add_u32 v11, v13, 2, 0
	v_dual_sub_f32 v36, v58, v36 :: v_dual_sub_f32 v1, v1, v50
	v_add_f32_e32 v113, v38, v34
	s_delay_alu instid0(VALU_DEP_4)
	v_add_nc_u32_e32 v13, 0xa00, v9
	v_add_nc_u32_e32 v9, 0xc00, v9
	;; [unrolled: 1-line block ×4, first 2 shown]
	ds_store_2addr_b32 v13, v80, v65 offset0:80 offset1:140
	ds_store_2addr_b32 v9, v83, v52 offset0:72 offset1:132
	;; [unrolled: 1-line block ×4, first 2 shown]
	v_add_nc_u32_e32 v16, 0x1400, v15
	v_add_nc_u32_e32 v15, 0x1800, v15
	ds_store_2addr_b32 v11, v56, v3 offset0:40 offset1:100
	v_add_nc_u32_e32 v3, 0x1c00, v14
	v_add_nc_u32_e32 v14, 0x1e00, v14
	ds_store_2addr_b32 v17, v72, v55 offset0:176 offset1:236
	ds_store_2addr_b32 v16, v66, v27 offset0:160 offset1:220
	;; [unrolled: 1-line block ×7, first 2 shown]
	global_wb scope:SCOPE_SE
	s_wait_dscnt 0x0
	s_barrier_signal -1
	s_barrier_wait -1
	global_inv scope:SCOPE_SE
	ds_load_2addr_b32 v[50:51], v24 offset1:180
	ds_load_2addr_b32 v[56:57], v12 offset0:104 offset1:164
	ds_load_2addr_b32 v[52:53], v45 offset0:80 offset1:140
	;; [unrolled: 1-line block ×5, first 2 shown]
	ds_load_b32 v111, v22
	ds_load_b32 v112, v23
	ds_load_2addr_b32 v[64:65], v42 offset0:96 offset1:156
	ds_load_2addr_b32 v[66:67], v74 offset0:72 offset1:132
	;; [unrolled: 1-line block ×11, first 2 shown]
	v_sub_f32_e32 v34, v38, v34
	global_wb scope:SCOPE_SE
	s_wait_dscnt 0x0
	s_barrier_signal -1
	s_barrier_wait -1
	global_inv scope:SCOPE_SE
	ds_store_2addr_b32 v24, v2, v6 offset1:60
	ds_store_2addr_b32 v24, v8, v10 offset0:120 offset1:180
	ds_store_2addr_b32 v84, v18, v19 offset0:112 offset1:172
	ds_store_2addr_b32 v12, v94, v95 offset0:104 offset1:164
	ds_store_2addr_b32 v42, v96, v87 offset0:96 offset1:156
	ds_store_2addr_b32 v85, v97, v98 offset0:88 offset1:148
	ds_store_2addr_b32 v13, v91, v92 offset0:80 offset1:140
	ds_store_2addr_b32 v9, v99, v100 offset0:72 offset1:132
	ds_store_2addr_b32 v9, v104, v106 offset0:192 offset1:252
	ds_store_2addr_b32 v17, v93, v101 offset0:56 offset1:116
	ds_store_2addr_b32 v17, v102, v32 offset0:176 offset1:236
	ds_store_2addr_b32 v11, v103, v31 offset0:40 offset1:100
	ds_store_2addr_b32 v16, v105, v107 offset0:160 offset1:220
	ds_store_2addr_b32 v15, v108, v33 offset0:24 offset1:84
	ds_store_2addr_b32 v15, v37, v4 offset0:144 offset1:204
	ds_store_2addr_b32 v3, v109, v113 offset0:8 offset1:68
	ds_store_2addr_b32 v3, v114, v29 offset0:128 offset1:188
	ds_store_2addr_b32 v14, v34, v5 offset0:120 offset1:180
	global_wb scope:SCOPE_SE
	s_wait_dscnt 0x0
	s_barrier_signal -1
	s_barrier_wait -1
	global_inv scope:SCOPE_SE
	s_and_saveexec_b32 s0, vcc_lo
	s_cbranch_execz .LBB0_21
; %bb.20:
	v_mul_u32_u24_e32 v0, 5, v25
	v_mad_u32_u24 v16, v25, 5, 0xfffffed4
	v_dual_mov_b32 v17, 0 :: v_dual_add_nc_u32 v94, 0x1400, v24
	v_add_co_u32 v90, s0, s8, v26
	s_delay_alu instid0(VALU_DEP_4) | instskip(NEXT) | instid1(VALU_DEP_3)
	v_lshlrev_b32_e32 v27, 3, v0
	v_lshlrev_b64_e32 v[0:1], 3, v[16:17]
	v_mad_u32_u24 v16, v25, 5, 0xfffffda8
	s_wait_alu 0xf1fe
	v_add_co_ci_u32_e64 v91, null, s9, 0, s0
	s_clause 0x1
	global_load_b128 v[4:7], v27, s[8:9] offset:2816
	global_load_b128 v[8:11], v27, s[8:9] offset:2800
	v_add_co_u32 v18, vcc_lo, s8, v0
	s_wait_alu 0xfffd
	v_add_co_ci_u32_e32 v19, vcc_lo, s9, v1, vcc_lo
	v_add_nc_u32_e32 v25, 0x1800, v24
	s_clause 0x3
	global_load_b128 v[0:3], v[18:19], off offset:2816
	global_load_b128 v[12:15], v[18:19], off offset:2800
	global_load_b64 v[102:103], v27, s[8:9] offset:2832
	global_load_b64 v[100:101], v[18:19], off offset:2832
	v_lshlrev_b64_e32 v[18:19], 3, v[16:17]
	v_mul_i32_i24_e32 v16, 5, v89
	v_add_nc_u32_e32 v92, 0xc00, v24
	v_add_nc_u32_e32 v106, 0x400, v24
	v_mul_lo_u32 v136, s3, v20
	v_add_nc_u32_e32 v93, 0x1e00, v24
	v_add_co_u32 v18, vcc_lo, s8, v18
	s_wait_alu 0xfffd
	v_add_co_ci_u32_e32 v19, vcc_lo, s9, v19, vcc_lo
	v_lshlrev_b64_e32 v[27:28], 3, v[16:17]
	v_mul_i32_i24_e32 v16, 5, v88
	v_mul_lo_u32 v137, s2, v21
	s_clause 0x2
	global_load_b128 v[44:47], v[18:19], off offset:2816
	global_load_b128 v[40:43], v[18:19], off offset:2800
	global_load_b64 v[98:99], v[18:19], off offset:2832
	v_add_co_u32 v18, vcc_lo, s8, v27
	s_wait_alu 0xfffd
	v_add_co_ci_u32_e32 v19, vcc_lo, s9, v28, vcc_lo
	s_clause 0x2
	global_load_b128 v[36:39], v[18:19], off offset:2816
	global_load_b128 v[28:31], v[18:19], off offset:2800
	global_load_b64 v[108:109], v[18:19], off offset:2832
	v_lshlrev_b64_e32 v[16:17], 3, v[16:17]
	v_add_nc_u32_e32 v105, 0x1c00, v24
	s_delay_alu instid0(VALU_DEP_2) | instskip(SKIP_1) | instid1(VALU_DEP_3)
	v_add_co_u32 v84, vcc_lo, s8, v16
	s_wait_alu 0xfffd
	v_add_co_ci_u32_e32 v85, vcc_lo, s9, v17, vcc_lo
	s_clause 0x2
	global_load_b128 v[32:35], v[84:85], off offset:2816
	global_load_b128 v[16:19], v[84:85], off offset:2800
	global_load_b64 v[88:89], v[84:85], off offset:2832
	ds_load_2addr_b32 v[86:87], v24 offset1:180
	ds_load_2addr_b32 v[114:115], v25 offset0:144 offset1:204
	ds_load_2addr_b32 v[116:117], v94 offset0:40 offset1:100
	ds_load_b32 v138, v23
	ds_load_b32 v113, v22
	v_add_nc_u32_e32 v27, 0x800, v24
	v_add_nc_u32_e32 v104, 0x1000, v24
	ds_load_2addr_b32 v[118:119], v92 offset0:192 offset1:252
	ds_load_2addr_b32 v[120:121], v27 offset0:88 offset1:148
	;; [unrolled: 1-line block ×4, first 2 shown]
	v_add_nc_u32_e32 v96, 0x200, v24
	v_mad_co_u64_u32 v[84:85], null, s2, v20, 0
	v_add_nc_u32_e32 v95, 0x600, v24
	s_delay_alu instid0(VALU_DEP_2) | instskip(SKIP_3) | instid1(VALU_DEP_2)
	v_add3_u32 v85, v85, v137, v136
	s_wait_loadcnt_dscnt 0xe06
	v_mul_f32_e32 v139, v5, v117
	v_mul_f32_e32 v5, v81, v5
	v_fmac_f32_e32 v139, v81, v4
	s_delay_alu instid0(VALU_DEP_2) | instskip(SKIP_2) | instid1(VALU_DEP_1)
	v_fma_f32 v4, v4, v117, -v5
	s_wait_loadcnt_dscnt 0xd03
	v_mul_f32_e32 v5, v119, v11
	v_fmac_f32_e32 v5, v79, v10
	v_add_nc_u32_e32 v97, 0xa00, v24
	s_clause 0x2
	global_load_b128 v[20:23], v[90:91], off offset:2816
	global_load_b128 v[24:27], v[90:91], off offset:2800
	global_load_b64 v[90:91], v[90:91], off offset:2832
	ds_load_2addr_b32 v[126:127], v93 offset0:120 offset1:180
	ds_load_2addr_b32 v[128:129], v92 offset0:72 offset1:132
	;; [unrolled: 1-line block ×6, first 2 shown]
	v_mul_f32_e32 v95, v83, v7
	v_mul_f32_e32 v7, v115, v7
	;; [unrolled: 1-line block ×3, first 2 shown]
	s_delay_alu instid0(VALU_DEP_3) | instskip(SKIP_1) | instid1(VALU_DEP_3)
	v_fma_f32 v115, v6, v115, -v95
	s_wait_dscnt 0x8
	v_dual_fmac_f32 v7, v83, v6 :: v_dual_mul_f32 v6, v9, v121
	s_delay_alu instid0(VALU_DEP_3)
	v_fma_f32 v11, v10, v119, -v96
	s_wait_loadcnt 0xf
	v_dual_mul_f32 v9, v77, v9 :: v_dual_mul_f32 v10, v114, v3
	ds_load_2addr_b32 v[94:95], v94 offset0:160 offset1:220
	s_wait_loadcnt 0xe
	v_dual_fmac_f32 v6, v77, v8 :: v_dual_mul_f32 v77, v78, v15
	v_fma_f32 v8, v8, v121, -v9
	v_mul_f32_e32 v9, v82, v3
	v_dual_mul_f32 v3, v1, v116 :: v_dual_fmac_f32 v10, v82, v2
	v_mul_f32_e32 v1, v80, v1
	s_delay_alu instid0(VALU_DEP_4) | instskip(NEXT) | instid1(VALU_DEP_4)
	v_add_f32_e32 v82, v8, v4
	v_fma_f32 v9, v2, v114, -v9
	s_delay_alu instid0(VALU_DEP_4)
	v_dual_mul_f32 v2, v118, v15 :: v_dual_fmac_f32 v3, v80, v0
	s_wait_loadcnt_dscnt 0xc06
	v_mul_f32_e32 v80, v101, v126
	ds_load_2addr_b32 v[96:97], v106 offset0:104 offset1:164
	ds_load_2addr_b32 v[106:107], v104 offset0:56 offset1:116
	;; [unrolled: 1-line block ×3, first 2 shown]
	v_fmac_f32_e32 v2, v78, v14
	s_wait_loadcnt_dscnt 0xa07
	v_dual_mul_f32 v78, v41, v131 :: v_dual_mul_f32 v81, v74, v101
	v_fmac_f32_e32 v80, v74, v100
	v_fma_f32 v0, v0, v116, -v1
	v_sub_f32_e32 v116, v2, v10
	s_delay_alu instid0(VALU_DEP_4)
	v_fmac_f32_e32 v78, v65, v40
	v_fma_f32 v77, v14, v118, -v77
	v_mul_f32_e32 v1, v75, v103
	v_add_f32_e32 v14, v11, v115
	v_fma_f32 v74, v100, v126, -v81
	s_wait_loadcnt_dscnt 0x605
	v_dual_mul_f32 v118, v109, v134 :: v_dual_mul_f32 v81, v99, v135
	v_fma_f32 v1, v102, v127, -v1
	v_mul_f32_e32 v79, v103, v127
	v_add_f32_e32 v101, v133, v11
	s_delay_alu instid0(VALU_DEP_4) | instskip(SKIP_1) | instid1(VALU_DEP_4)
	v_dual_sub_f32 v11, v11, v115 :: v_dual_fmac_f32 v118, v62, v108
	v_fmac_f32_e32 v81, v63, v98
	v_fmac_f32_e32 v79, v75, v102
	v_mul_f32_e32 v15, v13, v120
	v_dual_mul_f32 v13, v76, v13 :: v_dual_add_f32 v100, v101, v115
	v_fma_f32 v14, -0.5, v14, v133
	v_sub_f32_e32 v117, v3, v80
	s_delay_alu instid0(VALU_DEP_4)
	v_dual_fmac_f32 v15, v76, v12 :: v_dual_mul_f32 v76, v45, v125
	v_add_f32_e32 v103, v69, v5
	v_sub_f32_e32 v114, v5, v7
	v_add_f32_e32 v5, v5, v7
	v_fma_f32 v12, v12, v120, -v13
	v_dual_add_f32 v83, v6, v139 :: v_dual_fmac_f32 v76, v71, v44
	s_delay_alu instid0(VALU_DEP_4)
	v_fmamk_f32 v119, v114, 0xbf5db3d7, v14
	v_fmac_f32_e32 v14, 0x3f5db3d7, v114
	v_fma_f32 v69, -0.5, v5, v69
	v_mul_f32_e32 v13, v73, v47
	v_mul_f32_e32 v47, v123, v47
	;; [unrolled: 1-line block ×3, first 2 shown]
	v_add_f32_e32 v7, v103, v7
	v_fmamk_f32 v114, v11, 0x3f5db3d7, v69
	v_fma_f32 v13, v46, v123, -v13
	v_mul_f32_e32 v99, v63, v99
	v_fmac_f32_e32 v47, v73, v46
	v_dual_mul_f32 v41, v65, v41 :: v_dual_add_f32 v102, v12, v0
	v_add_f32_e32 v46, v139, v79
	s_delay_alu instid0(VALU_DEP_4)
	v_fma_f32 v63, v98, v135, -v99
	v_dual_add_f32 v98, v68, v2 :: v_dual_mul_f32 v45, v71, v45
	v_sub_f32_e32 v71, v4, v1
	v_add_f32_e32 v4, v4, v1
	v_fma_f32 v40, v40, v131, -v41
	v_sub_f32_e32 v41, v139, v79
	v_add_f32_e32 v99, v0, v74
	v_sub_f32_e32 v103, v0, v74
	v_fma_f32 v8, -0.5, v4, v8
	v_add_f32_e32 v65, v83, v79
	v_mul_f32_e32 v43, v129, v43
	v_add_f32_e32 v79, v2, v10
	v_mul_f32_e32 v109, v62, v109
	v_add_f32_e32 v10, v98, v10
	v_sub_f32_e32 v0, v7, v65
	v_add_f32_e32 v2, v7, v65
	v_fmac_f32_e32 v43, v67, v42
	s_wait_loadcnt_dscnt 0x501
	v_dual_add_f32 v7, v102, v74 :: v_dual_mul_f32 v74, v33, v107
	v_mul_f32_e32 v67, v66, v31
	v_mul_f32_e32 v31, v128, v31
	v_fma_f32 v5, v44, v125, -v45
	v_mul_f32_e32 v44, v72, v39
	v_fmac_f32_e32 v69, 0xbf5db3d7, v11
	s_delay_alu instid0(VALU_DEP_4)
	v_dual_mul_f32 v4, v55, v35 :: v_dual_fmac_f32 v31, v66, v30
	v_sub_f32_e32 v66, v76, v81
	v_fma_f32 v73, v42, v129, -v75
	v_mul_f32_e32 v39, v122, v39
	v_add_f32_e32 v42, v82, v1
	v_add_f32_e32 v75, v77, v9
	;; [unrolled: 1-line block ×3, first 2 shown]
	v_dual_add_f32 v62, v87, v73 :: v_dual_mul_f32 v45, v37, v124
	v_sub_f32_e32 v77, v77, v9
	v_fma_f32 v11, v38, v122, -v44
	v_fma_f32 v44, -0.5, v79, v68
	v_add_f32_e32 v101, v3, v80
	v_dual_add_f32 v68, v43, v47 :: v_dual_fmac_f32 v45, v70, v36
	v_add_f32_e32 v115, v15, v3
	v_mul_f32_e32 v37, v70, v37
	v_fmac_f32_e32 v39, v72, v38
	v_fma_f32 v38, -0.5, v46, v6
	v_add_f32_e32 v6, v82, v9
	v_fma_f32 v9, -0.5, v101, v15
	v_add_f32_e32 v15, v115, v80
	v_mul_f32_e32 v83, v29, v130
	v_mul_f32_e32 v29, v64, v29
	v_add_f32_e32 v65, v5, v63
	v_sub_f32_e32 v46, v43, v47
	s_delay_alu instid0(VALU_DEP_4) | instskip(NEXT) | instid1(VALU_DEP_4)
	v_dual_sub_f32 v70, v73, v13 :: v_dual_fmac_f32 v83, v64, v28
	v_fma_f32 v28, v28, v130, -v29
	v_sub_f32_e32 v64, v5, v63
	v_fma_f32 v36, v36, v124, -v37
	v_fma_f32 v72, v108, v134, -v109
	v_add_f32_e32 v29, v73, v13
	v_mul_f32_e32 v73, v95, v35
	v_fmamk_f32 v80, v71, 0x3f5db3d7, v38
	v_add_f32_e32 v43, v51, v43
	v_fma_f32 v82, v34, v95, -v4
	v_fmac_f32_e32 v74, v59, v32
	v_fma_f32 v37, v30, v128, -v67
	v_add_f32_e32 v67, v40, v5
	v_dual_mul_f32 v5, v59, v33 :: v_dual_sub_f32 v4, v10, v15
	v_fma_f32 v40, -0.5, v65, v40
	v_sub_f32_e32 v1, v100, v42
	v_fma_f32 v51, -0.5, v68, v51
	v_add_f32_e32 v3, v100, v42
	v_fma_f32 v42, -0.5, v75, v132
	v_dual_fmac_f32 v38, 0xbf5db3d7, v71 :: v_dual_fmac_f32 v73, v55, v34
	v_fma_f32 v55, v32, v107, -v5
	v_add_f32_e32 v30, v76, v81
	s_delay_alu instid0(VALU_DEP_4)
	v_fmamk_f32 v32, v116, 0xbf5db3d7, v42
	v_fmamk_f32 v71, v41, 0xbf5db3d7, v8
	v_fmac_f32_e32 v8, 0x3f5db3d7, v41
	v_fma_f32 v12, -0.5, v99, v12
	v_fma_f32 v41, -0.5, v30, v78
	v_add_f32_e32 v30, v67, v63
	v_mul_f32_e32 v65, -0.5, v71
	v_dual_mul_f32 v68, 0xbf5db3d7, v71 :: v_dual_mul_f32 v71, 0xbf5db3d7, v8
	v_dual_mul_f32 v67, 0.5, v8 :: v_dual_fmamk_f32 v8, v66, 0xbf5db3d7, v40
	v_fmac_f32_e32 v40, 0x3f5db3d7, v66
	s_delay_alu instid0(VALU_DEP_3)
	v_dual_fmamk_f32 v34, v77, 0x3f5db3d7, v44 :: v_dual_fmac_f32 v71, 0.5, v38
	v_dual_add_f32 v13, v62, v13 :: v_dual_sub_f32 v62, v45, v118
	s_wait_loadcnt 0x4
	v_dual_mul_f32 v35, v53, v19 :: v_dual_fmac_f32 v44, 0xbf5db3d7, v77
	v_dual_fmac_f32 v68, -0.5, v80 :: v_dual_fmac_f32 v67, 0x3f5db3d7, v38
	v_mul_f32_e32 v38, -0.5, v8
	s_delay_alu instid0(VALU_DEP_3)
	v_fma_f32 v77, v18, v93, -v35
	v_sub_f32_e32 v35, v36, v72
	v_mul_f32_e32 v75, v93, v19
	s_wait_loadcnt 0x3
	v_mul_f32_e32 v19, v61, v89
	v_fmac_f32_e32 v65, 0x3f5db3d7, v80
	s_delay_alu instid0(VALU_DEP_3) | instskip(SKIP_3) | instid1(VALU_DEP_4)
	v_dual_fmac_f32 v42, 0x3f5db3d7, v116 :: v_dual_fmac_f32 v75, v53, v18
	v_dual_add_f32 v33, v78, v76 :: v_dual_mul_f32 v76, v17, v97
	v_mul_f32_e32 v17, v57, v17
	v_add_f32_e32 v18, v45, v118
	v_sub_f32_e32 v100, v75, v73
	s_delay_alu instid0(VALU_DEP_4)
	v_add_f32_e32 v33, v33, v81
	v_fmac_f32_e32 v76, v57, v16
	v_add_f32_e32 v57, v36, v72
	v_add_f32_e32 v36, v28, v36
	v_fma_f32 v53, v16, v97, -v17
	v_sub_f32_e32 v17, v13, v30
	s_delay_alu instid0(VALU_DEP_3) | instskip(SKIP_3) | instid1(VALU_DEP_3)
	v_dual_add_f32 v97, v77, v82 :: v_dual_add_f32 v72, v36, v72
	v_fma_f32 v59, -0.5, v29, v87
	v_add_f32_e32 v29, v43, v47
	v_add_f32_e32 v43, v37, v11
	v_fmamk_f32 v81, v46, 0xbf5db3d7, v59
	v_fmac_f32_e32 v59, 0x3f5db3d7, v46
	v_dual_fmamk_f32 v46, v64, 0x3f5db3d7, v41 :: v_dual_sub_f32 v5, v6, v7
	v_add_f32_e32 v7, v6, v7
	v_dual_add_f32 v6, v10, v15 :: v_dual_fmamk_f32 v15, v117, 0xbf5db3d7, v12
	v_fmac_f32_e32 v12, 0x3f5db3d7, v117
	v_fmac_f32_e32 v41, 0xbf5db3d7, v64
	v_fmamk_f32 v64, v70, 0x3f5db3d7, v51
	s_delay_alu instid0(VALU_DEP_4)
	v_dual_fmac_f32 v51, 0xbf5db3d7, v70 :: v_dual_mul_f32 v70, 0xbf5db3d7, v15
	v_add_f32_e32 v45, v83, v45
	v_fma_f32 v83, -0.5, v18, v83
	v_dual_mul_f32 v66, 0.5, v12 :: v_dual_add_f32 v63, v112, v31
	v_mul_f32_e32 v87, 0xbf5db3d7, v12
	v_fmamk_f32 v10, v103, 0x3f5db3d7, v9
	s_delay_alu instid0(VALU_DEP_4) | instskip(SKIP_4) | instid1(VALU_DEP_2)
	v_fmamk_f32 v80, v35, 0x3f5db3d7, v83
	v_sub_f32_e32 v47, v31, v39
	s_wait_dscnt 0x0
	v_dual_mul_f32 v79, v89, v105 :: v_dual_fmac_f32 v38, 0x3f5db3d7, v46
	v_dual_fmac_f32 v70, -0.5, v10 :: v_dual_fmac_f32 v9, 0xbf5db3d7, v103
	v_fmac_f32_e32 v79, v61, v88
	v_add_f32_e32 v61, v31, v39
	v_add_f32_e32 v31, v13, v30
	v_dual_add_f32 v30, v29, v33 :: v_dual_add_f32 v93, v63, v39
	v_mul_f32_e32 v39, 0xbf5db3d7, v8
	v_sub_f32_e32 v8, v114, v68
	v_fma_f32 v78, v88, v105, -v19
	v_fma_f32 v88, -0.5, v43, v138
	v_fma_f32 v43, -0.5, v57, v28
	v_add_f32_e32 v19, v138, v37
	v_fma_f32 v89, -0.5, v61, v112
	v_dual_add_f32 v12, v55, v78 :: v_dual_mul_f32 v61, 0xbf5db3d7, v40
	s_delay_alu instid0(VALU_DEP_4) | instskip(SKIP_2) | instid1(VALU_DEP_4)
	v_fmamk_f32 v36, v62, 0xbf5db3d7, v43
	v_fmac_f32_e32 v39, -0.5, v46
	v_add_f32_e32 v57, v19, v11
	v_fma_f32 v102, -0.5, v12, v53
	s_delay_alu instid0(VALU_DEP_4) | instskip(SKIP_2) | instid1(VALU_DEP_3)
	v_dual_add_f32 v53, v53, v55 :: v_dual_mul_f32 v46, -0.5, v36
	v_dual_sub_f32 v16, v29, v33 :: v_dual_mul_f32 v29, -0.5, v15
	v_sub_f32_e32 v98, v55, v78
	v_dual_fmac_f32 v43, 0x3f5db3d7, v62 :: v_dual_fmac_f32 v46, 0x3f5db3d7, v80
	v_fmamk_f32 v63, v47, 0xbf5db3d7, v88
	v_sub_f32_e32 v37, v37, v11
	v_dual_fmac_f32 v29, 0x3f5db3d7, v10 :: v_dual_sub_f32 v10, v69, v71
	v_add_f32_e32 v95, v45, v118
	v_dual_mul_f32 v45, 0.5, v40 :: v_dual_add_f32 v40, v64, v39
	v_dual_sub_f32 v99, v74, v79 :: v_dual_add_f32 v78, v53, v78
	v_add_f32_e32 v11, v74, v79
	v_fmac_f32_e32 v61, 0.5, v41
	v_fmamk_f32 v62, v37, 0x3f5db3d7, v89
	v_fmac_f32_e32 v89, 0xbf5db3d7, v37
	v_add_f32_e32 v13, v119, v65
	v_fma_f32 v101, -0.5, v11, v76
	v_sub_f32_e32 v11, v14, v67
	v_add_f32_e32 v15, v14, v67
	v_dual_add_f32 v14, v69, v71 :: v_dual_sub_f32 v19, v32, v29
	v_dual_sub_f32 v18, v34, v70 :: v_dual_add_f32 v33, v32, v29
	v_add_f32_e32 v32, v34, v70
	v_fmac_f32_e32 v66, 0x3f5db3d7, v9
	v_fmac_f32_e32 v87, 0.5, v9
	v_sub_f32_e32 v9, v119, v65
	v_fmac_f32_e32 v45, 0x3f5db3d7, v41
	v_mul_f32_e32 v65, 0.5, v43
	v_mul_f32_e32 v67, 0xbf5db3d7, v43
	v_fmamk_f32 v69, v99, 0xbf5db3d7, v102
	v_sub_f32_e32 v37, v81, v38
	v_dual_add_f32 v41, v81, v38 :: v_dual_sub_f32 v38, v51, v61
	v_fmac_f32_e32 v83, 0xbf5db3d7, v35
	v_fmac_f32_e32 v102, 0x3f5db3d7, v99
	v_dual_add_f32 v70, v113, v77 :: v_dual_sub_f32 v29, v42, v66
	v_dual_add_f32 v35, v42, v66 :: v_dual_mul_f32 v66, 0xbf5db3d7, v36
	v_dual_sub_f32 v36, v64, v39 :: v_dual_sub_f32 v39, v59, v45
	v_add_f32_e32 v43, v59, v45
	v_fmac_f32_e32 v65, 0x3f5db3d7, v83
	v_fmac_f32_e32 v67, 0.5, v83
	v_fmamk_f32 v59, v98, 0x3f5db3d7, v101
	v_fmac_f32_e32 v101, 0xbf5db3d7, v98
	v_add_f32_e32 v55, v75, v73
	v_add_f32_e32 v83, v70, v82
	v_sub_f32_e32 v53, v77, v82
	v_mul_f32_e32 v82, 0xbf5db3d7, v102
	v_fmac_f32_e32 v88, 0x3f5db3d7, v47
	v_sub_f32_e32 v28, v44, v87
	v_add_f32_e32 v34, v44, v87
	v_fmac_f32_e32 v66, -0.5, v80
	v_dual_mul_f32 v80, -0.5, v69 :: v_dual_mul_f32 v81, 0.5, v102
	v_fma_f32 v87, -0.5, v55, v111
	v_mul_f32_e32 v77, 0xbf5db3d7, v69
	v_dual_add_f32 v55, v111, v75 :: v_dual_fmac_f32 v82, 0.5, v101
	v_add_f32_e32 v42, v51, v61
	v_fma_f32 v51, -0.5, v97, v113
	v_sub_f32_e32 v47, v57, v72
	v_dual_add_f32 v12, v114, v68 :: v_dual_sub_f32 v45, v63, v46
	v_sub_f32_e32 v44, v62, v66
	v_add_f32_e32 v64, v63, v46
	v_dual_add_f32 v63, v62, v66 :: v_dual_sub_f32 v62, v88, v65
	v_add_f32_e32 v66, v88, v65
	v_dual_add_f32 v68, v57, v72 :: v_dual_fmamk_f32 v57, v100, 0xbf5db3d7, v51
	v_dual_fmac_f32 v80, 0x3f5db3d7, v59 :: v_dual_fmac_f32 v51, 0x3f5db3d7, v100
	v_fmac_f32_e32 v81, 0x3f5db3d7, v101
	v_fmac_f32_e32 v77, -0.5, v59
	v_fmamk_f32 v59, v53, 0x3f5db3d7, v87
	v_fmac_f32_e32 v87, 0xbf5db3d7, v53
	s_wait_loadcnt 0x1
	v_dual_add_f32 v88, v55, v73 :: v_dual_mul_f32 v53, v52, v27
	v_dual_mul_f32 v55, v54, v23 :: v_dual_sub_f32 v70, v57, v80
	v_dual_sub_f32 v72, v51, v81 :: v_dual_add_f32 v69, v76, v74
	v_sub_f32_e32 v74, v83, v78
	v_add_f32_e32 v76, v57, v80
	v_fma_f32 v57, v26, v92, -v53
	v_fma_f32 v80, v22, v94, -v55
	v_add_f32_e32 v53, v51, v81
	v_add_f32_e32 v55, v83, v78
	v_mul_f32_e32 v51, v58, v21
	s_wait_loadcnt 0x0
	v_dual_mul_f32 v21, v21, v106 :: v_dual_mul_f32 v78, v91, v104
	v_add_f32_e32 v79, v69, v79
	v_sub_f32_e32 v69, v59, v77
	v_add_f32_e32 v75, v59, v77
	v_mul_f32_e32 v77, v60, v91
	v_mul_f32_e32 v83, v25, v96
	v_dual_fmac_f32 v21, v58, v20 :: v_dual_fmac_f32 v78, v60, v90
	v_fma_f32 v51, v20, v106, -v51
	s_delay_alu instid0(VALU_DEP_4) | instskip(NEXT) | instid1(VALU_DEP_4)
	v_fma_f32 v77, v90, v104, -v77
	v_dual_mul_f32 v58, v94, v23 :: v_dual_fmac_f32 v83, v56, v24
	s_delay_alu instid0(VALU_DEP_4) | instskip(SKIP_1) | instid1(VALU_DEP_3)
	v_add_f32_e32 v23, v21, v78
	v_add_f32_e32 v59, v57, v80
	v_dual_mul_f32 v81, v56, v25 :: v_dual_fmac_f32 v58, v54, v22
	v_mul_f32_e32 v27, v92, v27
	s_delay_alu instid0(VALU_DEP_4)
	v_fma_f32 v22, -0.5, v23, v83
	v_sub_f32_e32 v23, v51, v77
	v_fma_f32 v56, -0.5, v59, v86
	v_fma_f32 v20, v24, v96, -v81
	v_add_f32_e32 v25, v51, v77
	v_fmac_f32_e32 v27, v52, v26
	v_fmamk_f32 v59, v23, 0x3f5db3d7, v22
	v_fmac_f32_e32 v22, 0xbf5db3d7, v23
	v_lshrrev_b32_e32 v23, 3, v110
	v_fma_f32 v24, -0.5, v25, v20
	v_sub_f32_e32 v25, v21, v78
	v_sub_f32_e32 v52, v27, v58
	;; [unrolled: 1-line block ×3, first 2 shown]
	v_mul_hi_u32 v90, 0x16c16c17, v23
	s_delay_alu instid0(VALU_DEP_4)
	v_dual_sub_f32 v73, v88, v79 :: v_dual_fmamk_f32 v26, v25, 0xbf5db3d7, v24
	v_dual_add_f32 v54, v88, v79 :: v_dual_add_f32 v79, v27, v58
	v_add_f32_e32 v20, v20, v51
	v_sub_f32_e32 v61, v89, v67
	v_add_f32_e32 v65, v89, v67
	v_fmamk_f32 v89, v52, 0xbf5db3d7, v56
	v_fmac_f32_e32 v56, 0x3f5db3d7, v52
	v_add_f32_e32 v52, v87, v82
	v_add_f32_e32 v82, v86, v57
	v_lshrrev_b32_e32 v86, 2, v90
	v_mul_f32_e32 v60, -0.5, v26
	v_fma_f32 v87, -0.5, v79, v50
	v_mul_f32_e32 v79, 0xbf5db3d7, v26
	v_fmac_f32_e32 v24, 0x3f5db3d7, v25
	v_mul_u32_u24_e32 v26, 0x168, v86
	v_dual_add_f32 v77, v20, v77 :: v_dual_add_f32 v20, v50, v27
	v_sub_f32_e32 v51, v57, v80
	s_delay_alu instid0(VALU_DEP_4) | instskip(NEXT) | instid1(VALU_DEP_4)
	v_mul_f32_e32 v81, 0.5, v24
	v_sub_nc_u32_e32 v88, v110, v26
	v_dual_fmac_f32 v60, 0x3f5db3d7, v59 :: v_dual_add_f32 v21, v83, v21
	v_add_f32_e32 v58, v20, v58
	s_delay_alu instid0(VALU_DEP_4) | instskip(NEXT) | instid1(VALU_DEP_4)
	v_fmac_f32_e32 v81, 0x3f5db3d7, v22
	v_mad_co_u64_u32 v[26:27], null, s16, v88, 0
	v_add_f32_e32 v80, v82, v80
	v_fmamk_f32 v82, v51, 0x3f5db3d7, v87
	v_dual_fmac_f32 v79, -0.5, v59 :: v_dual_mul_f32 v90, 0xbf5db3d7, v24
	v_sub_f32_e32 v23, v89, v60
	v_dual_add_f32 v57, v89, v60 :: v_dual_mov_b32 v20, v27
	v_dual_add_f32 v83, v21, v78 :: v_dual_add_nc_u32 v60, 0x168, v88
	v_sub_f32_e32 v25, v56, v81
	v_fmac_f32_e32 v87, 0xbf5db3d7, v51
	s_delay_alu instid0(VALU_DEP_4)
	v_mad_co_u64_u32 v[20:21], null, s17, v88, v[20:21]
	v_dual_fmac_f32 v90, 0.5, v22 :: v_dual_sub_f32 v51, v80, v77
	v_dual_sub_f32 v22, v82, v79 :: v_dual_add_f32 v59, v56, v81
	v_add_f32_e32 v78, v80, v77
	v_add_f32_e32 v56, v82, v79
	v_lshlrev_b64_e32 v[79:80], 3, v[84:85]
	v_mad_co_u64_u32 v[81:82], null, s16, v60, 0
	v_sub_f32_e32 v50, v58, v83
	v_dual_add_f32 v77, v58, v83 :: v_dual_add_nc_u32 v58, 0x2d0, v88
	v_mov_b32_e32 v27, v20
	v_lshlrev_b64_e32 v[20:21], 3, v[48:49]
	v_add_co_u32 v49, vcc_lo, s6, v79
	s_wait_alu 0xfffd
	v_add_co_ci_u32_e32 v83, vcc_lo, s7, v80, vcc_lo
	v_mad_co_u64_u32 v[79:80], null, s16, v58, 0
	v_mov_b32_e32 v48, v82
	v_lshlrev_b64_e32 v[26:27], 3, v[26:27]
	v_add_nc_u32_e32 v89, 0x438, v88
	v_add_co_u32 v20, vcc_lo, v49, v20
	s_delay_alu instid0(VALU_DEP_4)
	v_mad_co_u64_u32 v[48:49], null, s17, v60, v[48:49]
	s_wait_alu 0xfffd
	v_add_co_ci_u32_e32 v21, vcc_lo, v83, v21, vcc_lo
	v_dual_mov_b32 v49, v80 :: v_dual_add_nc_u32 v60, 60, v110
	v_mad_co_u64_u32 v[83:84], null, s16, v89, 0
	v_add_co_u32 v26, vcc_lo, v20, v26
	s_wait_alu 0xfffd
	v_add_co_ci_u32_e32 v27, vcc_lo, v21, v27, vcc_lo
	v_mad_co_u64_u32 v[85:86], null, s17, v58, v[49:50]
	v_lshrrev_b32_e32 v49, 3, v60
	global_store_b64 v[26:27], v[77:78], off
	v_mov_b32_e32 v26, v84
	v_add_nc_u32_e32 v86, 0x5a0, v88
	v_sub_f32_e32 v24, v87, v90
	v_mul_hi_u32 v84, 0x16c16c17, v49
	v_mov_b32_e32 v80, v85
	v_mad_co_u64_u32 v[26:27], null, s17, v89, v[26:27]
	v_mad_co_u64_u32 v[77:78], null, s16, v86, 0
	v_mov_b32_e32 v82, v48
	v_add_f32_e32 v58, v87, v90
	v_lshrrev_b32_e32 v27, 2, v84
	v_dual_mov_b32 v84, v26 :: v_dual_add_nc_u32 v87, 0x708, v88
	s_delay_alu instid0(VALU_DEP_4) | instskip(SKIP_1) | instid1(VALU_DEP_4)
	v_lshlrev_b64_e32 v[48:49], 3, v[81:82]
	v_mov_b32_e32 v26, v78
	v_mul_u32_u24_e32 v85, 0x168, v27
	s_delay_alu instid0(VALU_DEP_4) | instskip(SKIP_2) | instid1(VALU_DEP_4)
	v_mad_co_u64_u32 v[81:82], null, s16, v87, 0
	v_lshlrev_b64_e32 v[79:80], 3, v[79:80]
	v_add_co_u32 v48, vcc_lo, v20, v48
	v_sub_nc_u32_e32 v60, v60, v85
	v_lshlrev_b64_e32 v[83:84], 3, v[83:84]
	s_wait_alu 0xfffd
	v_add_co_ci_u32_e32 v49, vcc_lo, v21, v49, vcc_lo
	v_add_co_u32 v79, vcc_lo, v20, v79
	v_mad_u32_u24 v60, 0x870, v27, v60
	v_mad_co_u64_u32 v[26:27], null, s17, v86, v[26:27]
	v_mov_b32_e32 v27, v82
	s_wait_alu 0xfffd
	v_add_co_ci_u32_e32 v80, vcc_lo, v21, v80, vcc_lo
	v_mad_co_u64_u32 v[85:86], null, s16, v60, 0
	s_delay_alu instid0(VALU_DEP_4) | instskip(SKIP_2) | instid1(VALU_DEP_4)
	v_dual_add_f32 v67, v93, v95 :: v_dual_mov_b32 v78, v26
	v_mad_co_u64_u32 v[87:88], null, s17, v87, v[27:28]
	v_add_co_u32 v82, vcc_lo, v20, v83
	v_mov_b32_e32 v26, v86
	s_wait_alu 0xfffd
	v_add_co_ci_u32_e32 v83, vcc_lo, v21, v84, vcc_lo
	s_clause 0x2
	global_store_b64 v[48:49], v[58:59], off
	global_store_b64 v[79:80], v[56:57], off
	;; [unrolled: 1-line block ×3, first 2 shown]
	v_mad_co_u64_u32 v[26:27], null, s17, v60, v[26:27]
	v_lshlrev_b64_e32 v[48:49], 3, v[77:78]
	v_dual_mov_b32 v82, v87 :: v_dual_add_nc_u32 v77, 0x168, v60
	v_add_nc_u32_e32 v79, 0x2d0, v60
	v_add_nc_u32_e32 v80, 0x438, v60
	v_sub_f32_e32 v46, v93, v95
	s_delay_alu instid0(VALU_DEP_4)
	v_mad_co_u64_u32 v[50:51], null, s16, v77, 0
	v_mov_b32_e32 v86, v26
	v_lshlrev_b64_e32 v[26:27], 3, v[81:82]
	v_add_co_u32 v48, vcc_lo, v20, v48
	s_wait_alu 0xfffd
	v_add_co_ci_u32_e32 v49, vcc_lo, v21, v49, vcc_lo
	v_lshlrev_b64_e32 v[58:59], 3, v[85:86]
	v_mad_co_u64_u32 v[77:78], null, s17, v77, v[51:52]
	v_add_co_u32 v26, vcc_lo, v20, v26
	s_wait_alu 0xfffd
	v_add_co_ci_u32_e32 v27, vcc_lo, v21, v27, vcc_lo
	v_mad_co_u64_u32 v[56:57], null, s16, v79, 0
	v_add_co_u32 v58, vcc_lo, v20, v58
	v_add_nc_u32_e32 v81, 0x78, v110
	s_wait_alu 0xfffd
	v_add_co_ci_u32_e32 v59, vcc_lo, v21, v59, vcc_lo
	v_mov_b32_e32 v51, v77
	s_clause 0x2
	global_store_b64 v[48:49], v[24:25], off
	global_store_b64 v[26:27], v[22:23], off
	;; [unrolled: 1-line block ×3, first 2 shown]
	v_lshrrev_b32_e32 v25, 3, v81
	v_mad_co_u64_u32 v[77:78], null, s17, v79, v[57:58]
	v_lshlrev_b64_e32 v[22:23], 3, v[50:51]
	v_add_nc_u32_e32 v27, 0x5a0, v60
	s_delay_alu instid0(VALU_DEP_4) | instskip(SKIP_2) | instid1(VALU_DEP_4)
	v_mul_hi_u32 v50, 0x16c16c17, v25
	v_mad_co_u64_u32 v[78:79], null, s16, v80, 0
	v_add_nc_u32_e32 v59, 0xb4, v110
	v_mad_co_u64_u32 v[25:26], null, s16, v27, 0
	v_mov_b32_e32 v57, v77
	v_add_co_u32 v22, vcc_lo, v20, v22
	s_wait_alu 0xfffd
	v_add_co_ci_u32_e32 v23, vcc_lo, v21, v23, vcc_lo
	v_lshrrev_b32_e32 v54, 2, v50
	v_lshlrev_b64_e32 v[48:49], 3, v[56:57]
	v_mov_b32_e32 v24, v79
	global_store_b64 v[22:23], v[52:53], off
	v_mov_b32_e32 v22, v26
	v_mul_u32_u24_e32 v26, 0x168, v54
	v_add_nc_u32_e32 v52, 0x708, v60
	v_add_co_u32 v23, vcc_lo, v20, v48
	v_mad_co_u64_u32 v[50:51], null, s17, v80, v[24:25]
	s_delay_alu instid0(VALU_DEP_4) | instskip(NEXT) | instid1(VALU_DEP_3)
	v_sub_nc_u32_e32 v48, v81, v26
	v_mad_co_u64_u32 v[26:27], null, s17, v27, v[22:23]
	s_wait_alu 0xfffd
	v_add_co_ci_u32_e32 v24, vcc_lo, v21, v49, vcc_lo
	s_delay_alu instid0(VALU_DEP_3) | instskip(SKIP_3) | instid1(VALU_DEP_4)
	v_mad_u32_u24 v58, 0x870, v54, v48
	v_mad_co_u64_u32 v[48:49], null, s16, v52, 0
	v_mov_b32_e32 v79, v50
	v_lshlrev_b64_e32 v[25:26], 3, v[25:26]
	v_mad_co_u64_u32 v[50:51], null, s16, v58, 0
	global_store_b64 v[23:24], v[75:76], off
	v_lshlrev_b64_e32 v[22:23], 3, v[78:79]
	v_dual_mov_b32 v24, v49 :: v_dual_add_nc_u32 v55, 0x168, v58
	v_add_nc_u32_e32 v56, 0x438, v58
	v_dual_mov_b32 v27, v51 :: v_dual_add_nc_u32 v60, 0x5a0, v58
	s_delay_alu instid0(VALU_DEP_3)
	v_mad_co_u64_u32 v[51:52], null, s17, v52, v[24:25]
	v_add_co_u32 v22, vcc_lo, v20, v22
	s_wait_alu 0xfffd
	v_add_co_ci_u32_e32 v23, vcc_lo, v21, v23, vcc_lo
	v_mad_co_u64_u32 v[52:53], null, s17, v58, v[27:28]
	v_mad_co_u64_u32 v[53:54], null, s16, v55, 0
	v_add_co_u32 v24, vcc_lo, v20, v25
	s_wait_alu 0xfffd
	v_add_co_ci_u32_e32 v25, vcc_lo, v21, v26, vcc_lo
	v_mov_b32_e32 v49, v51
	global_store_b64 v[22:23], v[73:74], off
	v_mov_b32_e32 v22, v54
	global_store_b64 v[24:25], v[71:72], off
	v_mov_b32_e32 v51, v52
	v_lshlrev_b64_e32 v[23:24], 3, v[48:49]
	s_delay_alu instid0(VALU_DEP_2) | instskip(SKIP_1) | instid1(VALU_DEP_3)
	v_lshlrev_b64_e32 v[25:26], 3, v[50:51]
	v_mad_co_u64_u32 v[51:52], null, s16, v56, 0
	v_mad_co_u64_u32 v[48:49], null, s17, v55, v[22:23]
	v_add_nc_u32_e32 v55, 0x2d0, v58
	v_add_co_u32 v22, vcc_lo, v20, v23
	s_wait_alu 0xfffd
	v_add_co_ci_u32_e32 v23, vcc_lo, v21, v24, vcc_lo
	s_delay_alu instid0(VALU_DEP_3) | instskip(SKIP_4) | instid1(VALU_DEP_3)
	v_mad_co_u64_u32 v[49:50], null, s16, v55, 0
	v_mov_b32_e32 v54, v48
	v_add_co_u32 v24, vcc_lo, v20, v25
	s_wait_alu 0xfffd
	v_add_co_ci_u32_e32 v25, vcc_lo, v21, v26, vcc_lo
	v_lshlrev_b64_e32 v[26:27], 3, v[53:54]
	v_mov_b32_e32 v48, v50
	v_lshrrev_b32_e32 v50, 3, v59
	s_delay_alu instid0(VALU_DEP_2) | instskip(SKIP_1) | instid1(VALU_DEP_3)
	v_mad_co_u64_u32 v[53:54], null, s17, v55, v[48:49]
	v_mov_b32_e32 v48, v52
	v_mul_hi_u32 v52, 0x16c16c17, v50
	v_add_co_u32 v26, vcc_lo, v20, v26
	s_wait_alu 0xfffd
	v_add_co_ci_u32_e32 v27, vcc_lo, v21, v27, vcc_lo
	v_mad_co_u64_u32 v[54:55], null, s16, v60, 0
	s_clause 0x2
	global_store_b64 v[22:23], v[69:70], off
	global_store_b64 v[24:25], v[67:68], off
	;; [unrolled: 1-line block ×3, first 2 shown]
	v_lshrrev_b32_e32 v27, 2, v52
	v_mad_co_u64_u32 v[56:57], null, s17, v56, v[48:49]
	v_dual_mov_b32 v50, v53 :: v_dual_add_nc_u32 v53, 0x708, v58
	s_delay_alu instid0(VALU_DEP_3) | instskip(SKIP_1) | instid1(VALU_DEP_3)
	v_mul_u32_u24_e32 v48, 0x168, v27
	v_mov_b32_e32 v24, v55
	v_lshlrev_b64_e32 v[22:23], 3, v[49:50]
	v_mov_b32_e32 v52, v56
	s_delay_alu instid0(VALU_DEP_4) | instskip(NEXT) | instid1(VALU_DEP_4)
	v_sub_nc_u32_e32 v48, v59, v48
	v_mad_co_u64_u32 v[24:25], null, s17, v60, v[24:25]
	v_mad_co_u64_u32 v[25:26], null, s16, v53, 0
	s_delay_alu instid0(VALU_DEP_3) | instskip(SKIP_3) | instid1(VALU_DEP_4)
	v_mad_u32_u24 v58, 0x870, v27, v48
	v_lshlrev_b64_e32 v[48:49], 3, v[51:52]
	v_add_co_u32 v22, vcc_lo, v20, v22
	v_mov_b32_e32 v55, v24
	v_mad_co_u64_u32 v[50:51], null, s16, v58, 0
	v_dual_mov_b32 v24, v26 :: v_dual_add_nc_u32 v59, 0x168, v58
	s_delay_alu instid0(VALU_DEP_3) | instskip(SKIP_2) | instid1(VALU_DEP_3)
	v_lshlrev_b64_e32 v[26:27], 3, v[54:55]
	s_wait_alu 0xfffd
	v_add_co_ci_u32_e32 v23, vcc_lo, v21, v23, vcc_lo
	v_mad_co_u64_u32 v[52:53], null, s17, v53, v[24:25]
	v_mov_b32_e32 v24, v51
	v_add_co_u32 v48, vcc_lo, v20, v48
	s_wait_alu 0xfffd
	v_add_co_ci_u32_e32 v49, vcc_lo, v21, v49, vcc_lo
	s_delay_alu instid0(VALU_DEP_3)
	v_mad_co_u64_u32 v[55:56], null, s17, v58, v[24:25]
	v_add_co_u32 v53, vcc_lo, v20, v26
	v_mad_co_u64_u32 v[56:57], null, s16, v59, 0
	v_mov_b32_e32 v26, v52
	v_add_nc_u32_e32 v52, 0x2d0, v58
	s_wait_alu 0xfffd
	v_add_co_ci_u32_e32 v54, vcc_lo, v21, v27, vcc_lo
	s_clause 0x2
	global_store_b64 v[22:23], v[63:64], off
	global_store_b64 v[48:49], v[46:47], off
	;; [unrolled: 1-line block ×3, first 2 shown]
	v_lshlrev_b64_e32 v[22:23], 3, v[25:26]
	v_mad_co_u64_u32 v[25:26], null, s16, v52, 0
	v_dual_mov_b32 v51, v55 :: v_dual_mov_b32 v24, v57
	s_delay_alu instid0(VALU_DEP_3) | instskip(NEXT) | instid1(VALU_DEP_2)
	v_add_co_u32 v22, vcc_lo, v20, v22
	v_lshlrev_b64_e32 v[46:47], 3, v[50:51]
	s_delay_alu instid0(VALU_DEP_3) | instskip(SKIP_3) | instid1(VALU_DEP_4)
	v_mad_co_u64_u32 v[48:49], null, s17, v59, v[24:25]
	v_dual_mov_b32 v24, v26 :: v_dual_add_nc_u32 v49, 0xf0, v110
	s_wait_alu 0xfffd
	v_add_co_ci_u32_e32 v23, vcc_lo, v21, v23, vcc_lo
	v_add_co_u32 v26, vcc_lo, v20, v46
	s_wait_alu 0xfffd
	v_add_co_ci_u32_e32 v27, vcc_lo, v21, v47, vcc_lo
	v_mad_co_u64_u32 v[46:47], null, s17, v52, v[24:25]
	v_lshrrev_b32_e32 v24, 3, v49
	s_clause 0x1
	global_store_b64 v[22:23], v[44:45], off
	global_store_b64 v[26:27], v[30:31], off
	v_add_nc_u32_e32 v27, 0x438, v58
	v_dual_mov_b32 v57, v48 :: v_dual_add_nc_u32 v50, 0x5a0, v58
	v_mul_hi_u32 v24, 0x16c16c17, v24
	v_mov_b32_e32 v26, v46
	s_delay_alu instid0(VALU_DEP_4) | instskip(NEXT) | instid1(VALU_DEP_4)
	v_mad_co_u64_u32 v[30:31], null, s16, v27, 0
	v_mad_co_u64_u32 v[44:45], null, s16, v50, 0
	s_delay_alu instid0(VALU_DEP_3) | instskip(SKIP_4) | instid1(VALU_DEP_3)
	v_lshlrev_b64_e32 v[25:26], 3, v[25:26]
	v_add_nc_u32_e32 v52, 0x708, v58
	v_lshrrev_b32_e32 v51, 2, v24
	v_lshlrev_b64_e32 v[22:23], 3, v[56:57]
	v_mov_b32_e32 v24, v31
	v_mul_u32_u24_e32 v31, 0x168, v51
	s_delay_alu instid0(VALU_DEP_2) | instskip(SKIP_1) | instid1(VALU_DEP_3)
	v_mad_co_u64_u32 v[46:47], null, s17, v27, v[24:25]
	v_mov_b32_e32 v24, v45
	v_sub_nc_u32_e32 v27, v49, v31
	v_mad_co_u64_u32 v[47:48], null, s16, v52, 0
	v_add_co_u32 v22, vcc_lo, v20, v22
	s_delay_alu instid0(VALU_DEP_3)
	v_mad_u32_u24 v53, 0x870, v51, v27
	s_wait_alu 0xfffd
	v_add_co_ci_u32_e32 v23, vcc_lo, v21, v23, vcc_lo
	v_mad_co_u64_u32 v[49:50], null, s17, v50, v[24:25]
	v_add_co_u32 v24, vcc_lo, v20, v25
	v_mad_co_u64_u32 v[50:51], null, s16, v53, 0
	s_wait_alu 0xfffd
	v_add_co_ci_u32_e32 v25, vcc_lo, v21, v26, vcc_lo
	v_mov_b32_e32 v26, v48
	s_clause 0x1
	global_store_b64 v[22:23], v[42:43], off
	global_store_b64 v[24:25], v[40:41], off
	v_add_nc_u32_e32 v42, 0x168, v53
	v_mov_b32_e32 v24, v51
	v_mad_co_u64_u32 v[26:27], null, s17, v52, v[26:27]
	v_mov_b32_e32 v31, v46
	v_mov_b32_e32 v45, v49
	s_delay_alu instid0(VALU_DEP_4) | instskip(NEXT) | instid1(VALU_DEP_3)
	v_mad_co_u64_u32 v[24:25], null, s17, v53, v[24:25]
	v_lshlrev_b64_e32 v[22:23], 3, v[30:31]
	v_mov_b32_e32 v48, v26
	v_mad_co_u64_u32 v[25:26], null, s16, v42, 0
	v_lshlrev_b64_e32 v[30:31], 3, v[44:45]
	v_mov_b32_e32 v51, v24
	v_add_co_u32 v22, vcc_lo, v20, v22
	v_lshlrev_b64_e32 v[40:41], 3, v[47:48]
	v_dual_mov_b32 v24, v26 :: v_dual_add_nc_u32 v47, 0x2d0, v53
	s_wait_alu 0xfffd
	v_add_co_ci_u32_e32 v23, vcc_lo, v21, v23, vcc_lo
	v_add_co_u32 v30, vcc_lo, v20, v30
	v_lshlrev_b64_e32 v[26:27], 3, v[50:51]
	s_wait_alu 0xfffd
	v_add_co_ci_u32_e32 v31, vcc_lo, v21, v31, vcc_lo
	v_mad_co_u64_u32 v[42:43], null, s17, v42, v[24:25]
	v_add_co_u32 v40, vcc_lo, v20, v40
	v_mad_co_u64_u32 v[43:44], null, s16, v47, 0
	s_wait_alu 0xfffd
	v_add_co_ci_u32_e32 v41, vcc_lo, v21, v41, vcc_lo
	v_add_co_u32 v45, vcc_lo, v20, v26
	s_wait_alu 0xfffd
	v_add_co_ci_u32_e32 v46, vcc_lo, v21, v27, vcc_lo
	global_store_b64 v[22:23], v[16:17], off
	v_mov_b32_e32 v26, v42
	s_clause 0x2
	global_store_b64 v[30:31], v[38:39], off
	global_store_b64 v[40:41], v[36:37], off
	;; [unrolled: 1-line block ×3, first 2 shown]
	v_mov_b32_e32 v6, v44
	v_add_nc_u32_e32 v30, 0x12c, v110
	v_add_nc_u32_e32 v31, 0x5a0, v53
	v_lshlrev_b64_e32 v[16:17], 3, v[25:26]
	v_add_nc_u32_e32 v26, 0x438, v53
	v_mad_co_u64_u32 v[6:7], null, s17, v47, v[6:7]
	v_lshrrev_b32_e32 v7, 3, v30
	v_mad_co_u64_u32 v[24:25], null, s16, v31, 0
	s_delay_alu instid0(VALU_DEP_4) | instskip(NEXT) | instid1(VALU_DEP_3)
	v_mad_co_u64_u32 v[22:23], null, s16, v26, 0
	v_mul_hi_u32 v27, 0x16c16c17, v7
	v_mov_b32_e32 v44, v6
	v_add_nc_u32_e32 v36, 0x708, v53
	v_add_co_u32 v16, vcc_lo, v20, v16
	s_wait_alu 0xfffd
	v_add_co_ci_u32_e32 v17, vcc_lo, v21, v17, vcc_lo
	v_mov_b32_e32 v6, v23
	v_lshrrev_b32_e32 v37, 2, v27
	global_store_b64 v[16:17], v[34:35], off
	v_lshlrev_b64_e32 v[16:17], 3, v[43:44]
	v_mad_co_u64_u32 v[6:7], null, s17, v26, v[6:7]
	v_mad_co_u64_u32 v[26:27], null, s16, v36, 0
	v_mov_b32_e32 v7, v25
	v_mul_u32_u24_e32 v25, 0x168, v37
	v_add_co_u32 v16, vcc_lo, v20, v16
	v_mov_b32_e32 v23, v6
	s_delay_alu instid0(VALU_DEP_4) | instskip(NEXT) | instid1(VALU_DEP_4)
	v_mad_co_u64_u32 v[6:7], null, s17, v31, v[7:8]
	v_sub_nc_u32_e32 v25, v30, v25
	v_mov_b32_e32 v7, v27
	s_delay_alu instid0(VALU_DEP_4)
	v_lshlrev_b64_e32 v[22:23], 3, v[22:23]
	s_wait_alu 0xfffd
	v_add_co_ci_u32_e32 v17, vcc_lo, v21, v17, vcc_lo
	v_mad_u32_u24 v37, 0x870, v37, v25
	v_mad_co_u64_u32 v[30:31], null, s17, v36, v[7:8]
	v_mov_b32_e32 v25, v6
	v_add_co_u32 v6, vcc_lo, v20, v22
	s_delay_alu instid0(VALU_DEP_4)
	v_mad_co_u64_u32 v[34:35], null, s16, v37, 0
	s_wait_alu 0xfffd
	v_add_co_ci_u32_e32 v7, vcc_lo, v21, v23, vcc_lo
	v_mov_b32_e32 v27, v30
	global_store_b64 v[16:17], v[32:33], off
	v_lshlrev_b64_e32 v[22:23], 3, v[24:25]
	global_store_b64 v[6:7], v[4:5], off
	v_mov_b32_e32 v16, v35
	v_lshlrev_b64_e32 v[4:5], 3, v[26:27]
	v_add_nc_u32_e32 v26, 0x438, v37
	v_add_nc_u32_e32 v24, 0x2d0, v37
	;; [unrolled: 1-line block ×3, first 2 shown]
	v_mad_co_u64_u32 v[6:7], null, s17, v37, v[16:17]
	v_add_co_u32 v16, vcc_lo, v20, v22
	s_wait_alu 0xfffd
	v_add_co_ci_u32_e32 v17, vcc_lo, v21, v23, vcc_lo
	v_add_nc_u32_e32 v22, 0x168, v37
	v_add_co_u32 v4, vcc_lo, v20, v4
	s_wait_alu 0xfffd
	v_add_co_ci_u32_e32 v5, vcc_lo, v21, v5, vcc_lo
	v_mov_b32_e32 v35, v6
	v_mad_co_u64_u32 v[6:7], null, s16, v22, 0
	s_clause 0x1
	global_store_b64 v[16:17], v[28:29], off
	global_store_b64 v[4:5], v[18:19], off
	v_mad_co_u64_u32 v[18:19], null, s16, v26, 0
	v_mad_co_u64_u32 v[16:17], null, s16, v24, 0
	v_lshlrev_b64_e32 v[4:5], 3, v[34:35]
	v_mad_co_u64_u32 v[22:23], null, s17, v22, v[7:8]
	v_add_nc_u32_e32 v29, 0x5a0, v37
	v_mov_b32_e32 v7, v19
	v_mad_co_u64_u32 v[23:24], null, s17, v24, v[17:18]
	v_add_co_u32 v4, vcc_lo, v20, v4
	s_delay_alu instid0(VALU_DEP_4)
	v_mad_co_u64_u32 v[24:25], null, s16, v29, 0
	s_wait_alu 0xfffd
	v_add_co_ci_u32_e32 v5, vcc_lo, v21, v5, vcc_lo
	v_mad_co_u64_u32 v[26:27], null, s17, v26, v[7:8]
	v_mov_b32_e32 v7, v22
	v_mad_co_u64_u32 v[27:28], null, s16, v30, 0
	global_store_b64 v[4:5], v[2:3], off
	v_mov_b32_e32 v2, v25
	v_lshlrev_b64_e32 v[3:4], 3, v[6:7]
	v_mov_b32_e32 v17, v23
	v_mov_b32_e32 v19, v26
	s_delay_alu instid0(VALU_DEP_3)
	v_mad_co_u64_u32 v[5:6], null, s17, v29, v[2:3]
	v_mov_b32_e32 v2, v28
	v_add_co_u32 v3, vcc_lo, v20, v3
	v_lshlrev_b64_e32 v[6:7], 3, v[16:17]
	s_wait_alu 0xfffd
	v_add_co_ci_u32_e32 v4, vcc_lo, v21, v4, vcc_lo
	s_delay_alu instid0(VALU_DEP_3)
	v_mad_co_u64_u32 v[16:17], null, s17, v30, v[2:3]
	v_lshlrev_b64_e32 v[17:18], 3, v[18:19]
	v_mov_b32_e32 v25, v5
	v_add_co_u32 v5, vcc_lo, v20, v6
	s_wait_alu 0xfffd
	v_add_co_ci_u32_e32 v6, vcc_lo, v21, v7, vcc_lo
	v_mov_b32_e32 v28, v16
	v_lshlrev_b64_e32 v[22:23], 3, v[24:25]
	v_add_co_u32 v16, vcc_lo, v20, v17
	s_wait_alu 0xfffd
	v_add_co_ci_u32_e32 v17, vcc_lo, v21, v18, vcc_lo
	v_lshlrev_b64_e32 v[18:19], 3, v[27:28]
	s_delay_alu instid0(VALU_DEP_4) | instskip(SKIP_2) | instid1(VALU_DEP_3)
	v_add_co_u32 v22, vcc_lo, v20, v22
	s_wait_alu 0xfffd
	v_add_co_ci_u32_e32 v23, vcc_lo, v21, v23, vcc_lo
	v_add_co_u32 v18, vcc_lo, v20, v18
	s_wait_alu 0xfffd
	v_add_co_ci_u32_e32 v19, vcc_lo, v21, v19, vcc_lo
	s_clause 0x4
	global_store_b64 v[3:4], v[14:15], off
	global_store_b64 v[5:6], v[12:13], off
	;; [unrolled: 1-line block ×5, first 2 shown]
.LBB0_21:
	s_nop 0
	s_sendmsg sendmsg(MSG_DEALLOC_VGPRS)
	s_endpgm
	.section	.rodata,"a",@progbits
	.p2align	6, 0x0
	.amdhsa_kernel fft_rtc_back_len2160_factors_10_6_6_6_wgs_60_tpt_60_halfLds_sp_op_CI_CI_sbrr_dirReg
		.amdhsa_group_segment_fixed_size 0
		.amdhsa_private_segment_fixed_size 0
		.amdhsa_kernarg_size 104
		.amdhsa_user_sgpr_count 2
		.amdhsa_user_sgpr_dispatch_ptr 0
		.amdhsa_user_sgpr_queue_ptr 0
		.amdhsa_user_sgpr_kernarg_segment_ptr 1
		.amdhsa_user_sgpr_dispatch_id 0
		.amdhsa_user_sgpr_private_segment_size 0
		.amdhsa_wavefront_size32 1
		.amdhsa_uses_dynamic_stack 0
		.amdhsa_enable_private_segment 0
		.amdhsa_system_sgpr_workgroup_id_x 1
		.amdhsa_system_sgpr_workgroup_id_y 0
		.amdhsa_system_sgpr_workgroup_id_z 0
		.amdhsa_system_sgpr_workgroup_info 0
		.amdhsa_system_vgpr_workitem_id 0
		.amdhsa_next_free_vgpr 140
		.amdhsa_next_free_sgpr 43
		.amdhsa_reserve_vcc 1
		.amdhsa_float_round_mode_32 0
		.amdhsa_float_round_mode_16_64 0
		.amdhsa_float_denorm_mode_32 3
		.amdhsa_float_denorm_mode_16_64 3
		.amdhsa_fp16_overflow 0
		.amdhsa_workgroup_processor_mode 1
		.amdhsa_memory_ordered 1
		.amdhsa_forward_progress 0
		.amdhsa_round_robin_scheduling 0
		.amdhsa_exception_fp_ieee_invalid_op 0
		.amdhsa_exception_fp_denorm_src 0
		.amdhsa_exception_fp_ieee_div_zero 0
		.amdhsa_exception_fp_ieee_overflow 0
		.amdhsa_exception_fp_ieee_underflow 0
		.amdhsa_exception_fp_ieee_inexact 0
		.amdhsa_exception_int_div_zero 0
	.end_amdhsa_kernel
	.text
.Lfunc_end0:
	.size	fft_rtc_back_len2160_factors_10_6_6_6_wgs_60_tpt_60_halfLds_sp_op_CI_CI_sbrr_dirReg, .Lfunc_end0-fft_rtc_back_len2160_factors_10_6_6_6_wgs_60_tpt_60_halfLds_sp_op_CI_CI_sbrr_dirReg
                                        ; -- End function
	.section	.AMDGPU.csdata,"",@progbits
; Kernel info:
; codeLenInByte = 22100
; NumSgprs: 45
; NumVgprs: 140
; ScratchSize: 0
; MemoryBound: 0
; FloatMode: 240
; IeeeMode: 1
; LDSByteSize: 0 bytes/workgroup (compile time only)
; SGPRBlocks: 5
; VGPRBlocks: 17
; NumSGPRsForWavesPerEU: 45
; NumVGPRsForWavesPerEU: 140
; Occupancy: 10
; WaveLimiterHint : 1
; COMPUTE_PGM_RSRC2:SCRATCH_EN: 0
; COMPUTE_PGM_RSRC2:USER_SGPR: 2
; COMPUTE_PGM_RSRC2:TRAP_HANDLER: 0
; COMPUTE_PGM_RSRC2:TGID_X_EN: 1
; COMPUTE_PGM_RSRC2:TGID_Y_EN: 0
; COMPUTE_PGM_RSRC2:TGID_Z_EN: 0
; COMPUTE_PGM_RSRC2:TIDIG_COMP_CNT: 0
	.text
	.p2alignl 7, 3214868480
	.fill 96, 4, 3214868480
	.type	__hip_cuid_eaf96010d4ffb30f,@object ; @__hip_cuid_eaf96010d4ffb30f
	.section	.bss,"aw",@nobits
	.globl	__hip_cuid_eaf96010d4ffb30f
__hip_cuid_eaf96010d4ffb30f:
	.byte	0                               ; 0x0
	.size	__hip_cuid_eaf96010d4ffb30f, 1

	.ident	"AMD clang version 19.0.0git (https://github.com/RadeonOpenCompute/llvm-project roc-6.4.0 25133 c7fe45cf4b819c5991fe208aaa96edf142730f1d)"
	.section	".note.GNU-stack","",@progbits
	.addrsig
	.addrsig_sym __hip_cuid_eaf96010d4ffb30f
	.amdgpu_metadata
---
amdhsa.kernels:
  - .args:
      - .actual_access:  read_only
        .address_space:  global
        .offset:         0
        .size:           8
        .value_kind:     global_buffer
      - .offset:         8
        .size:           8
        .value_kind:     by_value
      - .actual_access:  read_only
        .address_space:  global
        .offset:         16
        .size:           8
        .value_kind:     global_buffer
      - .actual_access:  read_only
        .address_space:  global
        .offset:         24
        .size:           8
        .value_kind:     global_buffer
      - .actual_access:  read_only
        .address_space:  global
        .offset:         32
        .size:           8
        .value_kind:     global_buffer
      - .offset:         40
        .size:           8
        .value_kind:     by_value
      - .actual_access:  read_only
        .address_space:  global
        .offset:         48
        .size:           8
        .value_kind:     global_buffer
      - .actual_access:  read_only
        .address_space:  global
        .offset:         56
        .size:           8
        .value_kind:     global_buffer
      - .offset:         64
        .size:           4
        .value_kind:     by_value
      - .actual_access:  read_only
        .address_space:  global
        .offset:         72
        .size:           8
        .value_kind:     global_buffer
      - .actual_access:  read_only
        .address_space:  global
        .offset:         80
        .size:           8
        .value_kind:     global_buffer
      - .actual_access:  read_only
        .address_space:  global
        .offset:         88
        .size:           8
        .value_kind:     global_buffer
      - .actual_access:  write_only
        .address_space:  global
        .offset:         96
        .size:           8
        .value_kind:     global_buffer
    .group_segment_fixed_size: 0
    .kernarg_segment_align: 8
    .kernarg_segment_size: 104
    .language:       OpenCL C
    .language_version:
      - 2
      - 0
    .max_flat_workgroup_size: 60
    .name:           fft_rtc_back_len2160_factors_10_6_6_6_wgs_60_tpt_60_halfLds_sp_op_CI_CI_sbrr_dirReg
    .private_segment_fixed_size: 0
    .sgpr_count:     45
    .sgpr_spill_count: 0
    .symbol:         fft_rtc_back_len2160_factors_10_6_6_6_wgs_60_tpt_60_halfLds_sp_op_CI_CI_sbrr_dirReg.kd
    .uniform_work_group_size: 1
    .uses_dynamic_stack: false
    .vgpr_count:     140
    .vgpr_spill_count: 0
    .wavefront_size: 32
    .workgroup_processor_mode: 1
amdhsa.target:   amdgcn-amd-amdhsa--gfx1201
amdhsa.version:
  - 1
  - 2
...

	.end_amdgpu_metadata
